;; amdgpu-corpus repo=ROCm/rocFFT kind=compiled arch=gfx1201 opt=O3
	.text
	.amdgcn_target "amdgcn-amd-amdhsa--gfx1201"
	.amdhsa_code_object_version 6
	.protected	bluestein_single_back_len1452_dim1_sp_op_CI_CI ; -- Begin function bluestein_single_back_len1452_dim1_sp_op_CI_CI
	.globl	bluestein_single_back_len1452_dim1_sp_op_CI_CI
	.p2align	8
	.type	bluestein_single_back_len1452_dim1_sp_op_CI_CI,@function
bluestein_single_back_len1452_dim1_sp_op_CI_CI: ; @bluestein_single_back_len1452_dim1_sp_op_CI_CI
; %bb.0:
	s_load_b128 s[12:15], s[0:1], 0x28
	v_mul_u32_u24_e32 v1, 0x1f1, v0
	s_mov_b32 s2, exec_lo
	v_mov_b32_e32 v65, 0
	s_delay_alu instid0(VALU_DEP_2) | instskip(NEXT) | instid1(VALU_DEP_1)
	v_lshrrev_b32_e32 v1, 16, v1
	v_add_nc_u32_e32 v64, ttmp9, v1
	s_wait_kmcnt 0x0
	s_delay_alu instid0(VALU_DEP_1)
	v_cmpx_gt_u64_e64 s[12:13], v[64:65]
	s_cbranch_execz .LBB0_18
; %bb.1:
	s_clause 0x1
	s_load_b128 s[4:7], s[0:1], 0x18
	s_load_b128 s[8:11], s[0:1], 0x0
	v_mul_lo_u16 v1, 0x84, v1
	s_delay_alu instid0(VALU_DEP_1) | instskip(NEXT) | instid1(VALU_DEP_1)
	v_sub_nc_u16 v4, v0, v1
	v_and_b32_e32 v103, 0xffff, v4
	s_delay_alu instid0(VALU_DEP_1)
	v_lshlrev_b32_e32 v104, 3, v103
	s_wait_kmcnt 0x0
	s_load_b128 s[16:19], s[4:5], 0x0
	s_clause 0x8
	global_load_b64 v[65:66], v104, s[8:9]
	global_load_b64 v[69:70], v104, s[8:9] offset:1056
	global_load_b64 v[67:68], v104, s[8:9] offset:2112
	;; [unrolled: 1-line block ×8, first 2 shown]
	s_wait_kmcnt 0x0
	v_mad_co_u64_u32 v[0:1], null, s18, v64, 0
	v_mad_co_u64_u32 v[2:3], null, s16, v103, 0
	s_mul_u64 s[2:3], s[16:17], 0x420
	s_delay_alu instid0(VALU_DEP_1) | instskip(NEXT) | instid1(VALU_DEP_2)
	v_mad_co_u64_u32 v[5:6], null, s19, v64, v[1:2]
	v_mad_co_u64_u32 v[6:7], null, s17, v103, v[3:4]
	s_delay_alu instid0(VALU_DEP_2) | instskip(NEXT) | instid1(VALU_DEP_2)
	v_mov_b32_e32 v1, v5
	v_mov_b32_e32 v3, v6
	s_delay_alu instid0(VALU_DEP_2) | instskip(NEXT) | instid1(VALU_DEP_2)
	v_lshlrev_b64_e32 v[0:1], 3, v[0:1]
	v_lshlrev_b64_e32 v[2:3], 3, v[2:3]
	s_delay_alu instid0(VALU_DEP_2) | instskip(NEXT) | instid1(VALU_DEP_3)
	v_add_co_u32 v0, vcc_lo, s14, v0
	v_add_co_ci_u32_e32 v1, vcc_lo, s15, v1, vcc_lo
	s_delay_alu instid0(VALU_DEP_2) | instskip(SKIP_1) | instid1(VALU_DEP_2)
	v_add_co_u32 v0, vcc_lo, v0, v2
	s_wait_alu 0xfffd
	v_add_co_ci_u32_e32 v1, vcc_lo, v1, v3, vcc_lo
	s_delay_alu instid0(VALU_DEP_2) | instskip(SKIP_1) | instid1(VALU_DEP_2)
	v_add_co_u32 v2, vcc_lo, v0, s2
	s_wait_alu 0xfffd
	;; [unrolled: 4-line block ×3, first 2 shown]
	v_add_co_ci_u32_e32 v6, vcc_lo, s3, v3, vcc_lo
	s_clause 0x1
	global_load_b64 v[0:1], v[0:1], off
	global_load_b64 v[2:3], v[2:3], off
	v_add_co_u32 v7, vcc_lo, v5, s2
	s_wait_alu 0xfffd
	v_add_co_ci_u32_e32 v8, vcc_lo, s3, v6, vcc_lo
	s_clause 0x1
	global_load_b64 v[11:12], v[5:6], off
	global_load_b64 v[13:14], v[7:8], off
	v_add_co_u32 v9, vcc_lo, v7, s2
	s_wait_alu 0xfffd
	v_add_co_ci_u32_e32 v10, vcc_lo, s3, v8, vcc_lo
	s_delay_alu instid0(VALU_DEP_2) | instskip(SKIP_1) | instid1(VALU_DEP_2)
	v_add_co_u32 v5, vcc_lo, v9, s2
	s_wait_alu 0xfffd
	v_add_co_ci_u32_e32 v6, vcc_lo, s3, v10, vcc_lo
	global_load_b64 v[9:10], v[9:10], off
	v_add_co_u32 v7, vcc_lo, v5, s2
	s_wait_alu 0xfffd
	v_add_co_ci_u32_e32 v8, vcc_lo, s3, v6, vcc_lo
	global_load_b64 v[15:16], v[5:6], off
	;; [unrolled: 4-line block ×6, first 2 shown]
	s_clause 0x1
	global_load_b64 v[83:84], v104, s[8:9] offset:9504
	global_load_b64 v[85:86], v104, s[8:9] offset:10560
	global_load_b64 v[25:26], v[7:8], off
	v_add_nc_u32_e32 v6, 0x800, v104
	v_add_nc_u32_e32 v5, 0x1000, v104
	s_load_b128 s[4:7], s[6:7], 0x0
	s_load_b64 s[2:3], s[0:1], 0x38
	v_cmp_gt_u16_e32 vcc_lo, 0x58, v4
	s_wait_loadcnt 0xc
	v_mul_f32_e32 v27, v1, v66
	v_mul_f32_e32 v8, v0, v66
	s_wait_loadcnt 0xb
	v_mul_f32_e32 v29, v3, v70
	s_delay_alu instid0(VALU_DEP_3) | instskip(NEXT) | instid1(VALU_DEP_3)
	v_dual_mul_f32 v30, v2, v70 :: v_dual_fmac_f32 v27, v0, v65
	v_fma_f32 v28, v1, v65, -v8
	s_wait_loadcnt 0xa
	v_mul_f32_e32 v0, v12, v68
	s_delay_alu instid0(VALU_DEP_3)
	v_fma_f32 v30, v3, v69, -v30
	v_mul_f32_e32 v1, v11, v68
	v_dual_fmac_f32 v29, v2, v69 :: v_dual_add_nc_u32 v8, 0x2000, v104
	s_wait_loadcnt 0x9
	v_mul_f32_e32 v2, v14, v72
	v_mul_f32_e32 v3, v13, v72
	v_dual_fmac_f32 v0, v11, v67 :: v_dual_add_nc_u32 v7, 0x1800, v104
	v_fma_f32 v1, v12, v67, -v1
	s_wait_loadcnt 0x8
	v_dual_fmac_f32 v2, v13, v71 :: v_dual_mul_f32 v11, v10, v74
	v_mul_f32_e32 v12, v9, v74
	v_fma_f32 v3, v14, v71, -v3
	ds_store_2addr_b64 v104, v[27:28], v[29:30] offset1:132
	s_wait_loadcnt 0x7
	v_mul_f32_e32 v14, v15, v76
	v_mul_f32_e32 v13, v16, v76
	v_fmac_f32_e32 v11, v9, v73
	v_fma_f32 v12, v10, v73, -v12
	s_wait_loadcnt 0x6
	v_mul_f32_e32 v9, v18, v78
	v_fma_f32 v14, v16, v75, -v14
	v_dual_mul_f32 v10, v17, v78 :: v_dual_fmac_f32 v13, v15, v75
	s_wait_loadcnt 0x5
	v_mul_f32_e32 v15, v20, v82
	v_dual_mul_f32 v16, v19, v82 :: v_dual_fmac_f32 v9, v17, v77
	s_delay_alu instid0(VALU_DEP_3)
	v_fma_f32 v10, v18, v77, -v10
	s_wait_loadcnt 0x4
	v_mul_f32_e32 v17, v22, v80
	v_fmac_f32_e32 v15, v19, v81
	v_fma_f32 v16, v20, v81, -v16
	v_mul_f32_e32 v18, v21, v80
	s_wait_loadcnt 0x2
	v_mul_f32_e32 v19, v24, v84
	v_dual_mul_f32 v20, v23, v84 :: v_dual_fmac_f32 v17, v21, v79
	s_wait_loadcnt 0x0
	v_mul_f32_e32 v21, v26, v86
	v_mul_f32_e32 v27, v25, v86
	v_fma_f32 v18, v22, v79, -v18
	v_fmac_f32_e32 v19, v23, v83
	v_fma_f32 v20, v24, v83, -v20
	v_fmac_f32_e32 v21, v25, v85
	v_fma_f32 v22, v26, v85, -v27
	ds_store_2addr_b64 v6, v[0:1], v[2:3] offset0:8 offset1:140
	ds_store_2addr_b64 v5, v[11:12], v[13:14] offset0:16 offset1:148
	;; [unrolled: 1-line block ×4, first 2 shown]
	ds_store_b64 v104, v[21:22] offset:10560
	global_wb scope:SCOPE_SE
	s_wait_dscnt 0x0
	s_wait_kmcnt 0x0
	s_barrier_signal -1
	s_barrier_wait -1
	global_inv scope:SCOPE_SE
	ds_load_2addr_b64 v[0:3], v104 offset1:132
	v_mul_lo_u16 v17, v4, 11
	ds_load_b64 v[25:26], v104 offset:10560
	ds_load_2addr_b64 v[9:12], v6 offset0:8 offset1:140
	ds_load_2addr_b64 v[13:16], v8 offset0:32 offset1:164
	v_and_b32_e32 v8, 0xffff, v17
	ds_load_2addr_b64 v[17:20], v5 offset0:16 offset1:148
	ds_load_2addr_b64 v[21:24], v7 offset0:24 offset1:156
	v_add_nc_u32_e32 v27, 0x1c00, v104
	global_wb scope:SCOPE_SE
	s_wait_dscnt 0x0
	s_barrier_signal -1
	v_lshlrev_b32_e32 v105, 3, v8
	s_barrier_wait -1
	global_inv scope:SCOPE_SE
	v_dual_add_f32 v7, v0, v2 :: v_dual_add_f32 v8, v1, v3
	v_dual_add_f32 v28, v25, v2 :: v_dual_add_f32 v29, v26, v3
	v_sub_f32_e32 v2, v2, v25
	v_sub_f32_e32 v33, v10, v16
	v_dual_sub_f32 v3, v3, v26 :: v_dual_sub_f32 v32, v9, v15
	v_sub_f32_e32 v36, v11, v13
	v_sub_f32_e32 v40, v17, v23
	s_delay_alu instid0(VALU_DEP_4) | instskip(NEXT) | instid1(VALU_DEP_4)
	v_dual_mul_f32 v52, 0xbf68dda4, v33 :: v_dual_add_f32 v31, v16, v10
	v_mul_f32_e32 v48, 0xbf7d64f0, v3
	v_dual_add_f32 v42, v21, v19 :: v_dual_sub_f32 v45, v20, v22
	v_dual_add_f32 v7, v7, v9 :: v_dual_mul_f32 v88, 0x3e903f40, v36
	v_add_f32_e32 v8, v8, v10
	v_mul_f32_e32 v10, 0xbf0a6770, v2
	v_dual_mul_f32 v46, 0xbf68dda4, v3 :: v_dual_mul_f32 v47, 0xbf68dda4, v2
	v_add_f32_e32 v30, v15, v9
	s_delay_alu instid0(VALU_DEP_4)
	v_add_f32_e32 v8, v8, v12
	v_dual_add_f32 v35, v14, v12 :: v_dual_sub_f32 v44, v19, v21
	v_dual_mul_f32 v9, 0xbf0a6770, v3 :: v_dual_mul_f32 v90, 0xbf0a6770, v36
	v_mul_f32_e32 v49, 0xbf7d64f0, v2
	v_dual_mul_f32 v50, 0xbf4178ce, v3 :: v_dual_sub_f32 v37, v12, v14
	v_dual_mul_f32 v54, 0xbf4178ce, v33 :: v_dual_sub_f32 v41, v18, v24
	v_mul_f32_e32 v58, 0x3f7d64f0, v33
	v_mul_f32_e32 v51, 0xbf4178ce, v2
	v_dual_mul_f32 v3, 0xbe903f40, v3 :: v_dual_mul_f32 v2, 0xbe903f40, v2
	s_delay_alu instid0(VALU_DEP_4)
	v_mul_f32_e32 v94, 0xbe903f40, v41
	v_dual_mul_f32 v59, 0x3f7d64f0, v32 :: v_dual_mul_f32 v92, 0x3f7d64f0, v41
	v_dual_mul_f32 v96, 0x3f7d64f0, v40 :: v_dual_add_f32 v7, v7, v11
	v_fmamk_f32 v12, v29, 0x3f575c64, v10
	v_fma_f32 v10, 0x3f575c64, v29, -v10
	v_mul_f32_e32 v53, 0xbf68dda4, v32
	v_fma_f32 v110, 0x3ed4b147, v28, -v46
	v_mul_f32_e32 v55, 0xbf4178ce, v32
	v_dual_fmamk_f32 v111, v29, 0x3ed4b147, v47 :: v_dual_fmac_f32 v46, 0x3ed4b147, v28
	v_mul_f32_e32 v57, 0x3e903f40, v32
	v_mul_f32_e32 v32, 0x3f0a6770, v32
	v_dual_mul_f32 v102, 0x3f68dda4, v45 :: v_dual_mul_f32 v109, 0x3f68dda4, v44
	v_add_f32_e32 v34, v13, v11
	v_dual_add_f32 v38, v23, v17 :: v_dual_add_f32 v39, v24, v18
	v_dual_mul_f32 v56, 0x3e903f40, v33 :: v_dual_add_f32 v43, v22, v20
	v_mul_f32_e32 v60, 0xbf7d64f0, v37
	v_dual_mul_f32 v61, 0x3e903f40, v37 :: v_dual_add_f32 v46, v0, v46
	v_dual_mul_f32 v62, 0x3f68dda4, v37 :: v_dual_mul_f32 v89, 0x3f68dda4, v36
	v_dual_mul_f32 v95, 0xbf4178ce, v40 :: v_dual_add_f32 v8, v8, v18
	v_dual_mul_f32 v98, 0xbe903f40, v40 :: v_dual_mul_f32 v99, 0xbe903f40, v45
	v_dual_mul_f32 v100, 0x3f0a6770, v45 :: v_dual_mul_f32 v107, 0x3f0a6770, v44
	v_mul_f32_e32 v108, 0xbf4178ce, v44
	v_fma_f32 v11, 0x3f575c64, v28, -v9
	v_mul_f32_e32 v106, 0xbe903f40, v44
	v_mul_f32_e32 v44, 0xbf7d64f0, v44
	v_fmac_f32_e32 v9, 0x3f575c64, v28
	v_dual_mul_f32 v33, 0x3f0a6770, v33 :: v_dual_add_f32 v12, v1, v12
	v_fma_f32 v47, 0x3ed4b147, v29, -v47
	v_fma_f32 v112, 0xbe11bafb, v28, -v48
	v_dual_fmamk_f32 v113, v29, 0xbe11bafb, v49 :: v_dual_fmac_f32 v48, 0xbe11bafb, v28
	v_fmamk_f32 v123, v31, 0xbe11bafb, v59
	v_mul_f32_e32 v63, 0xbf0a6770, v37
	v_mul_f32_e32 v37, 0xbf4178ce, v37
	v_fma_f32 v49, 0xbe11bafb, v29, -v49
	v_fma_f32 v114, 0xbf27a4f4, v28, -v50
	v_fmac_f32_e32 v50, 0xbf27a4f4, v28
	v_mul_f32_e32 v93, 0xbf0a6770, v41
	v_fma_f32 v116, 0xbf75a155, v28, -v3
	v_dual_fmac_f32 v3, 0xbf75a155, v28 :: v_dual_fmamk_f32 v28, v29, 0xbf75a155, v2
	v_mul_f32_e32 v97, 0xbf0a6770, v40
	v_mul_f32_e32 v40, 0x3f68dda4, v40
	v_fma_f32 v2, 0xbf75a155, v29, -v2
	v_fma_f32 v122, 0xbe11bafb, v30, -v58
	v_fmac_f32_e32 v58, 0xbe11bafb, v30
	v_mul_f32_e32 v87, 0xbf7d64f0, v36
	v_mul_f32_e32 v36, 0xbf4178ce, v36
	v_fmamk_f32 v115, v29, 0xbf27a4f4, v51
	v_mul_f32_e32 v91, 0xbf4178ce, v41
	v_mul_f32_e32 v41, 0x3f68dda4, v41
	v_fma_f32 v51, 0xbf27a4f4, v29, -v51
	v_fma_f32 v29, 0x3ed4b147, v30, -v52
	v_fmac_f32_e32 v52, 0x3ed4b147, v30
	v_fma_f32 v143, 0x3ed4b147, v42, -v102
	v_dual_fmac_f32 v102, 0x3ed4b147, v42 :: v_dual_add_f32 v7, v7, v17
	v_dual_mul_f32 v101, 0xbf4178ce, v45 :: v_dual_add_f32 v10, v1, v10
	v_fmamk_f32 v117, v31, 0x3ed4b147, v53
	v_mul_f32_e32 v45, 0xbf7d64f0, v45
	v_fma_f32 v53, 0x3ed4b147, v31, -v53
	v_fma_f32 v118, 0xbf27a4f4, v30, -v54
	v_dual_fmamk_f32 v119, v31, 0xbf27a4f4, v55 :: v_dual_fmac_f32 v54, 0xbf27a4f4, v30
	v_fma_f32 v55, 0xbf27a4f4, v31, -v55
	v_fma_f32 v120, 0xbf75a155, v30, -v56
	v_dual_fmamk_f32 v121, v31, 0xbf75a155, v57 :: v_dual_fmac_f32 v56, 0xbf75a155, v30
	v_fma_f32 v57, 0xbf75a155, v31, -v57
	v_fma_f32 v59, 0xbe11bafb, v31, -v59
	;; [unrolled: 1-line block ×3, first 2 shown]
	v_dual_fmac_f32 v33, 0x3f575c64, v30 :: v_dual_fmamk_f32 v30, v31, 0x3f575c64, v32
	v_fma_f32 v31, 0x3f575c64, v31, -v32
	v_fma_f32 v32, 0xbe11bafb, v34, -v60
	v_dual_fmac_f32 v60, 0xbe11bafb, v34 :: v_dual_add_f32 v9, v0, v9
	v_fma_f32 v125, 0xbf75a155, v34, -v61
	v_fma_f32 v126, 0x3ed4b147, v34, -v62
	v_dual_fmac_f32 v62, 0x3ed4b147, v34 :: v_dual_fmamk_f32 v147, v43, 0x3ed4b147, v109
	v_fma_f32 v128, 0xbf27a4f4, v34, -v37
	v_dual_fmac_f32 v37, 0xbf27a4f4, v34 :: v_dual_fmamk_f32 v132, v35, 0xbf27a4f4, v36
	v_dual_fmamk_f32 v129, v35, 0xbf75a155, v88 :: v_dual_add_f32 v10, v53, v10
	v_fma_f32 v88, 0xbf75a155, v35, -v88
	v_fmamk_f32 v130, v35, 0x3ed4b147, v89
	v_fma_f32 v89, 0x3ed4b147, v35, -v89
	v_dual_fmamk_f32 v131, v35, 0x3f575c64, v90 :: v_dual_add_f32 v18, v54, v46
	v_fma_f32 v90, 0x3f575c64, v35, -v90
	v_fma_f32 v133, 0xbe11bafb, v38, -v92
	v_dual_fmac_f32 v92, 0xbe11bafb, v38 :: v_dual_add_f32 v49, v1, v49
	v_fma_f32 v135, 0xbf75a155, v38, -v94
	v_dual_fmac_f32 v94, 0xbf75a155, v38 :: v_dual_add_f32 v51, v1, v51
	v_fma_f32 v136, 0x3ed4b147, v38, -v41
	v_dual_fmac_f32 v41, 0x3ed4b147, v38 :: v_dual_fmamk_f32 v140, v39, 0x3ed4b147, v40
	v_fmamk_f32 v137, v39, 0xbe11bafb, v96
	v_fma_f32 v96, 0xbe11bafb, v39, -v96
	v_fmamk_f32 v138, v39, 0x3f575c64, v97
	v_fma_f32 v97, 0x3f575c64, v39, -v97
	;; [unrolled: 2-line block ×3, first 2 shown]
	v_fma_f32 v141, 0x3f575c64, v42, -v100
	v_dual_fmac_f32 v100, 0x3f575c64, v42 :: v_dual_fmamk_f32 v145, v43, 0x3f575c64, v107
	v_fma_f32 v142, 0xbf27a4f4, v42, -v101
	v_fmac_f32_e32 v101, 0xbf27a4f4, v42
	v_fma_f32 v144, 0xbe11bafb, v42, -v45
	v_dual_fmac_f32 v45, 0xbe11bafb, v42 :: v_dual_fmamk_f32 v148, v43, 0xbe11bafb, v44
	v_fma_f32 v107, 0x3f575c64, v43, -v107
	v_fmamk_f32 v146, v43, 0xbf27a4f4, v108
	v_fma_f32 v108, 0xbf27a4f4, v43, -v108
	v_fma_f32 v109, 0x3ed4b147, v43, -v109
	v_add_f32_e32 v11, v0, v11
	v_fmac_f32_e32 v61, 0xbf75a155, v34
	v_dual_add_f32 v47, v1, v47 :: v_dual_add_f32 v48, v0, v48
	v_fma_f32 v127, 0x3f575c64, v34, -v63
	v_fmac_f32_e32 v63, 0x3f575c64, v34
	v_fmamk_f32 v34, v35, 0xbe11bafb, v87
	v_fma_f32 v87, 0xbe11bafb, v35, -v87
	v_fma_f32 v35, 0xbf27a4f4, v35, -v36
	;; [unrolled: 1-line block ×3, first 2 shown]
	v_fmac_f32_e32 v91, 0xbf27a4f4, v38
	v_add_f32_e32 v50, v0, v50
	v_fma_f32 v134, 0x3f575c64, v38, -v93
	v_fmac_f32_e32 v93, 0x3f575c64, v38
	v_fmamk_f32 v38, v39, 0xbf27a4f4, v95
	v_fma_f32 v95, 0xbf27a4f4, v39, -v95
	v_fma_f32 v39, 0x3ed4b147, v39, -v40
	;; [unrolled: 1-line block ×3, first 2 shown]
	v_dual_fmac_f32 v99, 0xbf75a155, v42 :: v_dual_fmamk_f32 v42, v43, 0xbf75a155, v106
	v_fma_f32 v106, 0xbf75a155, v43, -v106
	v_fma_f32 v43, 0xbe11bafb, v43, -v44
	v_add_f32_e32 v44, v0, v110
	v_dual_add_f32 v110, v1, v111 :: v_dual_add_f32 v111, v0, v112
	v_dual_add_f32 v112, v1, v113 :: v_dual_add_f32 v113, v0, v114
	;; [unrolled: 1-line block ×5, first 2 shown]
	v_add_f32_e32 v3, v8, v20
	v_add_f32_e32 v8, v117, v12
	;; [unrolled: 1-line block ×4, first 2 shown]
	v_dual_add_f32 v20, v120, v111 :: v_dual_add_f32 v47, v123, v114
	s_delay_alu instid0(VALU_DEP_4)
	v_dual_add_f32 v7, v29, v11 :: v_dual_add_f32 v8, v34, v8
	v_dual_add_f32 v11, v118, v44 :: v_dual_add_f32 v18, v61, v18
	v_add_f32_e32 v28, v121, v112
	v_add_f32_e32 v44, v57, v49
	;; [unrolled: 1-line block ×4, first 2 shown]
	v_dual_add_f32 v29, v56, v48 :: v_dual_add_f32 v30, v131, v47
	v_add_f32_e32 v49, v59, v51
	v_dual_add_f32 v9, v52, v9 :: v_dual_add_f32 v10, v87, v10
	v_add_f32_e32 v48, v58, v50
	v_add_f32_e32 v0, v33, v0
	;; [unrolled: 1-line block ×5, first 2 shown]
	v_dual_add_f32 v7, v32, v7 :: v_dual_add_f32 v8, v38, v8
	v_dual_add_f32 v21, v130, v28 :: v_dual_add_f32 v18, v92, v18
	v_add_f32_e32 v22, v62, v29
	v_add_f32_e32 v28, v89, v44
	;; [unrolled: 1-line block ×4, first 2 shown]
	v_dual_add_f32 v9, v60, v9 :: v_dual_add_f32 v2, v2, v23
	v_dual_add_f32 v11, v125, v11 :: v_dual_add_f32 v10, v95, v10
	;; [unrolled: 1-line block ×3, first 2 shown]
	v_add_f32_e32 v1, v35, v1
	v_dual_add_f32 v23, v97, v28 :: v_dual_add_f32 v28, v139, v30
	v_add_f32_e32 v30, v98, v32
	v_add_f32_e32 v32, v100, v18
	s_delay_alu instid0(VALU_DEP_4)
	v_dual_add_f32 v7, v36, v7 :: v_dual_add_f32 v38, v39, v1
	v_add_f32_e32 v50, v124, v115
	v_dual_add_f32 v12, v129, v12 :: v_dual_add_f32 v19, v88, v19
	v_dual_add_f32 v3, v3, v24 :: v_dual_add_f32 v36, v140, v17
	v_add_f32_e32 v9, v91, v9
	v_dual_add_f32 v37, v41, v0 :: v_dual_add_f32 v0, v40, v7
	v_add_f32_e32 v11, v133, v11
	v_dual_add_f32 v29, v127, v46 :: v_dual_add_f32 v20, v134, v20
	v_dual_add_f32 v31, v63, v48 :: v_dual_add_f32 v22, v93, v22
	s_delay_alu instid0(VALU_DEP_2)
	v_dual_add_f32 v33, v128, v50 :: v_dual_add_f32 v24, v135, v29
	v_dual_add_f32 v12, v137, v12 :: v_dual_add_f32 v39, v2, v13
	;; [unrolled: 1-line block ×3, first 2 shown]
	v_add_f32_e32 v34, v99, v9
	v_dual_add_f32 v21, v138, v21 :: v_dual_add_f32 v2, v141, v11
	v_add_f32_e32 v19, v96, v19
	v_add_f32_e32 v29, v94, v31
	v_dual_add_f32 v31, v136, v33 :: v_dual_add_f32 v14, v109, v30
	v_add_f32_e32 v35, v106, v10
	v_dual_add_f32 v7, v142, v20 :: v_dual_add_f32 v10, v108, v23
	v_add_f32_e32 v20, v41, v16
	v_add_f32_e32 v1, v42, v8
	v_dual_add_f32 v8, v146, v21 :: v_dual_add_f32 v33, v107, v19
	s_delay_alu instid0(VALU_DEP_3)
	v_dual_add_f32 v19, v39, v15 :: v_dual_add_f32 v20, v20, v26
	v_add_f32_e32 v3, v145, v12
	v_add_f32_e32 v11, v143, v24
	v_dual_add_f32 v12, v147, v28 :: v_dual_add_f32 v17, v144, v31
	v_dual_add_f32 v13, v102, v29 :: v_dual_add_f32 v16, v43, v38
	v_add_f32_e32 v15, v45, v37
	v_add_f32_e32 v9, v101, v22
	;; [unrolled: 1-line block ×3, first 2 shown]
	ds_store_2addr_b64 v105, v[11:12], v[17:18] offset0:4 offset1:5
	ds_store_2addr_b64 v105, v[15:16], v[13:14] offset0:6 offset1:7
	;; [unrolled: 1-line block ×3, first 2 shown]
	ds_store_b64 v105, v[34:35] offset:80
	ds_store_2addr_b64 v105, v[19:20], v[0:1] offset1:1
	ds_store_2addr_b64 v105, v[2:3], v[7:8] offset0:2 offset1:3
	global_wb scope:SCOPE_SE
	s_wait_dscnt 0x0
	s_barrier_signal -1
	s_barrier_wait -1
	global_inv scope:SCOPE_SE
	ds_load_2addr_b64 v[16:19], v104 offset1:132
	ds_load_2addr_b64 v[8:11], v6 offset0:8 offset1:228
	ds_load_2addr_b64 v[24:27], v27 offset0:72 offset1:204
	;; [unrolled: 1-line block ×3, first 2 shown]
	ds_load_b64 v[36:37], v104 offset:9856
                                        ; implicit-def: $vgpr38
	s_and_saveexec_b32 s0, vcc_lo
	s_cbranch_execz .LBB0_3
; %bb.2:
	ds_load_b64 v[32:33], v104 offset:3168
	ds_load_b64 v[34:35], v104 offset:7040
	;; [unrolled: 1-line block ×3, first 2 shown]
.LBB0_3:
	s_wait_alu 0xfffe
	s_or_b32 exec_lo, exec_lo, s0
	v_add_co_u32 v87, null, 0x108, v103
	v_add_nc_u16 v0, v103, 0x18c
	v_and_b32_e32 v3, 0xff, v103
	v_add_co_u32 v12, null, 0x84, v103
	s_delay_alu instid0(VALU_DEP_4) | instskip(NEXT) | instid1(VALU_DEP_4)
	v_and_b32_e32 v1, 0xffff, v87
	v_and_b32_e32 v2, 0xffff, v0
	s_delay_alu instid0(VALU_DEP_2) | instskip(NEXT) | instid1(VALU_DEP_2)
	v_mul_u32_u24_e32 v1, 0xba2f, v1
	v_mul_u32_u24_e32 v2, 0xba2f, v2
	s_delay_alu instid0(VALU_DEP_2) | instskip(SKIP_1) | instid1(VALU_DEP_3)
	v_lshrrev_b32_e32 v40, 19, v1
	v_mul_lo_u16 v1, 0x75, v3
	v_lshrrev_b32_e32 v106, 19, v2
	s_delay_alu instid0(VALU_DEP_3) | instskip(NEXT) | instid1(VALU_DEP_3)
	v_mul_lo_u16 v2, v40, 11
	v_lshrrev_b16 v1, 8, v1
	s_delay_alu instid0(VALU_DEP_3) | instskip(NEXT) | instid1(VALU_DEP_3)
	v_mul_lo_u16 v3, v106, 11
	v_sub_nc_u16 v41, v87, v2
	s_delay_alu instid0(VALU_DEP_3) | instskip(NEXT) | instid1(VALU_DEP_3)
	v_sub_nc_u16 v2, v103, v1
	v_sub_nc_u16 v107, v0, v3
	s_delay_alu instid0(VALU_DEP_3) | instskip(NEXT) | instid1(VALU_DEP_3)
	v_lshlrev_b16 v0, 1, v41
	v_lshrrev_b16 v2, 1, v2
	s_delay_alu instid0(VALU_DEP_3) | instskip(SKIP_1) | instid1(VALU_DEP_4)
	v_lshlrev_b16 v4, 1, v107
	v_mad_u16 v40, v40, 33, v41
	v_and_b32_e32 v0, 0xffff, v0
	s_delay_alu instid0(VALU_DEP_4) | instskip(NEXT) | instid1(VALU_DEP_4)
	v_and_b32_e32 v2, 0x7f, v2
	v_and_b32_e32 v4, 0xffff, v4
	s_delay_alu instid0(VALU_DEP_3) | instskip(NEXT) | instid1(VALU_DEP_3)
	v_lshlrev_b32_e32 v0, 3, v0
	v_add_nc_u16 v1, v2, v1
	s_delay_alu instid0(VALU_DEP_3) | instskip(SKIP_3) | instid1(VALU_DEP_2)
	v_lshlrev_b32_e32 v2, 3, v4
	global_load_b128 v[4:7], v0, s[10:11]
	v_and_b32_e32 v3, 0xffff, v12
	v_lshrrev_b16 v43, 3, v1
	v_mul_u32_u24_e32 v3, 0xba2f, v3
	s_delay_alu instid0(VALU_DEP_2) | instskip(SKIP_1) | instid1(VALU_DEP_3)
	v_mul_lo_u16 v14, v43, 11
	v_and_b32_e32 v41, 0xffff, v43
	v_lshrrev_b32_e32 v42, 19, v3
	s_delay_alu instid0(VALU_DEP_2) | instskip(NEXT) | instid1(VALU_DEP_2)
	v_mul_u32_u24_e32 v41, 33, v41
	v_mul_lo_u16 v13, v42, 11
	s_delay_alu instid0(VALU_DEP_1) | instskip(SKIP_1) | instid1(VALU_DEP_2)
	v_sub_nc_u16 v44, v12, v13
	v_sub_nc_u16 v12, v103, v14
	v_mad_u16 v42, v42, 33, v44
	v_lshlrev_b16 v13, 1, v44
	s_delay_alu instid0(VALU_DEP_3) | instskip(NEXT) | instid1(VALU_DEP_3)
	v_and_b32_e32 v45, 0xff, v12
	v_and_b32_e32 v42, 0xffff, v42
	s_delay_alu instid0(VALU_DEP_2)
	v_add_lshl_u32 v111, v41, v45, 3
	s_wait_loadcnt_dscnt 0x0
	v_dual_mul_f32 v44, v37, v7 :: v_dual_mul_f32 v43, v30, v5
	v_and_b32_e32 v12, 0xffff, v13
	v_lshlrev_b32_e32 v13, 4, v45
	v_mul_f32_e32 v45, v36, v7
	s_delay_alu instid0(VALU_DEP_4) | instskip(SKIP_4) | instid1(VALU_DEP_3)
	v_fma_f32 v36, v36, v6, -v44
	v_lshlrev_b32_e32 v110, 3, v42
	v_mul_f32_e32 v42, v31, v5
	v_fmac_f32_e32 v43, v31, v4
	v_dual_fmac_f32 v45, v37, v6 :: v_dual_lshlrev_b32 v12, 3, v12
	v_fma_f32 v42, v30, v4, -v42
	s_delay_alu instid0(VALU_DEP_1)
	v_dual_sub_f32 v44, v43, v45 :: v_dual_add_f32 v37, v8, v42
	global_load_b128 v[0:3], v2, s[10:11]
	s_wait_loadcnt 0x0
	v_mul_f32_e32 v46, v35, v1
	v_mul_f32_e32 v47, v39, v3
	;; [unrolled: 1-line block ×3, first 2 shown]
	s_delay_alu instid0(VALU_DEP_3) | instskip(NEXT) | instid1(VALU_DEP_3)
	v_fma_f32 v31, v34, v0, -v46
	v_fma_f32 v30, v38, v2, -v47
	v_and_b32_e32 v40, 0xffff, v40
	v_dual_add_f32 v46, v9, v43 :: v_dual_add_f32 v43, v43, v45
	v_fmac_f32_e32 v41, v35, v0
	s_delay_alu instid0(VALU_DEP_4) | instskip(NEXT) | instid1(VALU_DEP_4)
	v_add_f32_e32 v47, v31, v30
	v_dual_mul_f32 v40, v38, v3 :: v_dual_lshlrev_b32 v109, 3, v40
	v_dual_sub_f32 v35, v31, v30 :: v_dual_add_f32 v38, v37, v36
	s_delay_alu instid0(VALU_DEP_2)
	v_dual_fmac_f32 v9, -0.5, v43 :: v_dual_fmac_f32 v40, v39, v2
	s_clause 0x1
	global_load_b128 v[20:23], v13, s[10:11]
	global_load_b128 v[12:15], v12, s[10:11]
	v_add_f32_e32 v39, v42, v36
	v_sub_f32_e32 v42, v42, v36
	v_fma_f32 v36, -0.5, v47, v32
	v_sub_f32_e32 v34, v41, v40
	v_add_f32_e32 v48, v41, v40
	v_fma_f32 v8, -0.5, v39, v8
	v_add_f32_e32 v39, v46, v45
	global_wb scope:SCOPE_SE
	s_wait_loadcnt 0x0
	s_barrier_signal -1
	s_barrier_wait -1
	global_inv scope:SCOPE_SE
	v_mul_f32_e32 v49, v11, v21
	v_dual_mul_f32 v55, v27, v15 :: v_dual_mul_f32 v50, v10, v21
	v_mul_f32_e32 v51, v25, v23
	v_dual_mul_f32 v52, v24, v23 :: v_dual_mul_f32 v53, v29, v13
	v_mul_f32_e32 v54, v28, v13
	v_mul_f32_e32 v56, v26, v15
	v_fma_f32 v43, v10, v20, -v49
	v_dual_fmac_f32 v50, v11, v20 :: v_dual_fmamk_f32 v11, v42, 0xbf5db3d7, v9
	v_fma_f32 v24, v24, v22, -v51
	v_fmac_f32_e32 v52, v25, v22
	v_fma_f32 v25, v28, v12, -v53
	v_fmac_f32_e32 v54, v29, v12
	;; [unrolled: 2-line block ×3, first 2 shown]
	v_fmac_f32_e32 v56, v27, v14
	v_fmamk_f32 v10, v44, 0x3f5db3d7, v8
	v_dual_fmamk_f32 v93, v34, 0xbf5db3d7, v36 :: v_dual_add_f32 v28, v43, v24
	v_add_f32_e32 v27, v16, v43
	v_sub_f32_e32 v29, v50, v52
	v_sub_f32_e32 v43, v43, v24
	v_dual_add_f32 v45, v18, v25 :: v_dual_add_f32 v46, v25, v26
	v_add_f32_e32 v49, v54, v56
	v_fmac_f32_e32 v8, 0xbf5db3d7, v44
	v_add_f32_e32 v44, v50, v52
	v_fma_f32 v37, -0.5, v48, v33
	v_dual_add_f32 v42, v17, v50 :: v_dual_sub_f32 v47, v54, v56
	v_add_f32_e32 v48, v19, v54
	v_fma_f32 v16, -0.5, v28, v16
	v_fma_f32 v17, -0.5, v44, v17
	v_sub_f32_e32 v50, v25, v26
	v_fma_f32 v18, -0.5, v46, v18
	v_dual_fmac_f32 v19, -0.5, v49 :: v_dual_add_f32 v24, v27, v24
	v_add_f32_e32 v25, v42, v52
	v_dual_add_f32 v27, v48, v56 :: v_dual_fmamk_f32 v28, v29, 0x3f5db3d7, v16
	v_dual_fmac_f32 v16, 0xbf5db3d7, v29 :: v_dual_fmamk_f32 v29, v43, 0xbf5db3d7, v17
	v_fmamk_f32 v94, v35, 0x3f5db3d7, v37
	v_dual_fmac_f32 v17, 0x3f5db3d7, v43 :: v_dual_add_f32 v26, v45, v26
	v_fmamk_f32 v43, v50, 0xbf5db3d7, v19
	v_fmamk_f32 v42, v47, 0x3f5db3d7, v18
	v_fmac_f32_e32 v18, 0xbf5db3d7, v47
	v_fmac_f32_e32 v19, 0x3f5db3d7, v50
	ds_store_2addr_b64 v111, v[24:25], v[28:29] offset1:11
	ds_store_b64 v111, v[16:17] offset:176
	ds_store_2addr_b64 v110, v[26:27], v[42:43] offset1:11
	ds_store_b64 v110, v[18:19] offset:176
	;; [unrolled: 2-line block ×3, first 2 shown]
	s_and_saveexec_b32 s0, vcc_lo
	s_cbranch_execz .LBB0_5
; %bb.4:
	v_mad_u16 v8, v106, 33, v107
	v_dual_mul_f32 v9, 0x3f5db3d7, v35 :: v_dual_mul_f32 v10, 0x3f5db3d7, v34
	v_dual_add_f32 v11, v33, v41 :: v_dual_add_f32 v16, v32, v31
	s_delay_alu instid0(VALU_DEP_3) | instskip(NEXT) | instid1(VALU_DEP_3)
	v_and_b32_e32 v17, 0xffff, v8
	v_dual_sub_f32 v9, v37, v9 :: v_dual_add_f32 v8, v10, v36
	s_delay_alu instid0(VALU_DEP_3) | instskip(NEXT) | instid1(VALU_DEP_3)
	v_dual_add_f32 v11, v11, v40 :: v_dual_add_f32 v10, v16, v30
	v_lshlrev_b32_e32 v16, 3, v17
	ds_store_2addr_b64 v16, v[10:11], v[8:9] offset1:11
	ds_store_b64 v16, v[93:94] offset:176
.LBB0_5:
	s_wait_alu 0xfffe
	s_or_b32 exec_lo, exec_lo, s0
	v_and_b32_e32 v8, 0xff, v103
	global_wb scope:SCOPE_SE
	s_wait_dscnt 0x0
	s_barrier_signal -1
	s_barrier_wait -1
	global_inv scope:SCOPE_SE
	v_mul_lo_u16 v8, 0xf9, v8
	s_delay_alu instid0(VALU_DEP_1) | instskip(NEXT) | instid1(VALU_DEP_1)
	v_lshrrev_b16 v41, 13, v8
	v_mul_lo_u16 v8, v41, 33
	s_delay_alu instid0(VALU_DEP_1) | instskip(NEXT) | instid1(VALU_DEP_1)
	v_sub_nc_u16 v8, v103, v8
	v_and_b32_e32 v54, 0xff, v8
	s_delay_alu instid0(VALU_DEP_1)
	v_mad_co_u64_u32 v[24:25], null, 0x50, v54, s[10:11]
	s_clause 0x4
	global_load_b128 v[32:35], v[24:25], off offset:176
	global_load_b128 v[28:31], v[24:25], off offset:192
	;; [unrolled: 1-line block ×5, first 2 shown]
	v_add_nc_u32_e32 v40, 0x800, v104
	v_add_nc_u32_e32 v46, 0x1000, v104
	ds_load_2addr_b64 v[36:39], v104 offset1:132
	ds_load_b64 v[58:59], v104 offset:10560
	ds_load_2addr_b64 v[42:45], v40 offset0:8 offset1:140
	ds_load_2addr_b64 v[46:49], v46 offset0:16 offset1:148
	v_and_b32_e32 v41, 0xffff, v41
	v_add_nc_u32_e32 v50, 0x1800, v104
	s_wait_loadcnt_dscnt 0x401
	v_mul_f32_e32 v88, v43, v35
	s_wait_loadcnt_dscnt 0x300
	v_mul_f32_e32 v95, v46, v31
	v_mul_u32_u24_e32 v55, 0x16b, v41
	v_dual_mul_f32 v62, v39, v33 :: v_dual_add_nc_u32 v41, 0x2000, v104
	ds_load_2addr_b64 v[50:53], v50 offset0:24 offset1:156
	v_mul_f32_e32 v89, v42, v35
	v_add_lshl_u32 v108, v55, v54, 3
	ds_load_2addr_b64 v[54:57], v41 offset0:32 offset1:164
	v_dual_mul_f32 v63, v38, v33 :: v_dual_add_nc_u32 v60, 0x1400, v104
	v_dual_mul_f32 v90, v45, v29 :: v_dual_add_nc_u32 v61, 0x800, v108
	v_dual_mul_f32 v91, v44, v29 :: v_dual_mul_f32 v92, v47, v31
	s_wait_loadcnt 0x0
	v_dual_mul_f32 v96, v49, v17 :: v_dual_mul_f32 v115, v59, v27
	v_dual_mul_f32 v97, v48, v17 :: v_dual_mul_f32 v116, v58, v27
	v_fma_f32 v38, v38, v32, -v62
	global_wb scope:SCOPE_SE
	s_wait_dscnt 0x0
	v_fmac_f32_e32 v63, v39, v32
	v_fmac_f32_e32 v97, v49, v16
	v_fma_f32 v39, v42, v34, -v88
	v_fma_f32 v42, v44, v28, -v90
	v_dual_mul_f32 v99, v50, v19 :: v_dual_mul_f32 v100, v53, v9
	v_dual_mul_f32 v101, v52, v9 :: v_dual_mul_f32 v102, v55, v11
	v_dual_fmac_f32 v91, v45, v28 :: v_dual_mul_f32 v112, v54, v11
	v_dual_fmac_f32 v89, v43, v34 :: v_dual_mul_f32 v114, v56, v25
	v_fmac_f32_e32 v95, v47, v30
	v_dual_mul_f32 v98, v51, v19 :: v_dual_mul_f32 v113, v57, v25
	v_fma_f32 v43, v46, v30, -v92
	s_delay_alu instid0(VALU_DEP_4)
	v_dual_fmac_f32 v99, v51, v18 :: v_dual_fmac_f32 v114, v57, v24
	v_fma_f32 v46, v52, v8, -v100
	v_dual_fmac_f32 v101, v53, v8 :: v_dual_fmac_f32 v112, v55, v10
	v_fma_f32 v47, v54, v10, -v102
	v_fma_f32 v52, v58, v26, -v115
	v_dual_fmac_f32 v116, v59, v26 :: v_dual_add_f32 v49, v37, v63
	v_fma_f32 v44, v48, v16, -v96
	v_fma_f32 v45, v50, v18, -v98
	;; [unrolled: 1-line block ×3, first 2 shown]
	v_dual_add_f32 v48, v36, v38 :: v_dual_add_f32 v51, v38, v52
	v_dual_add_f32 v53, v63, v116 :: v_dual_add_f32 v56, v89, v114
	s_delay_alu instid0(VALU_DEP_3)
	v_dual_sub_f32 v38, v38, v52 :: v_dual_add_f32 v55, v39, v50
	v_dual_sub_f32 v54, v63, v116 :: v_dual_add_f32 v59, v42, v47
	v_dual_sub_f32 v58, v89, v114 :: v_dual_sub_f32 v63, v42, v47
	v_dual_sub_f32 v88, v91, v112 :: v_dual_sub_f32 v115, v97, v99
	v_dual_sub_f32 v57, v39, v50 :: v_dual_add_f32 v100, v44, v45
	v_dual_add_f32 v62, v91, v112 :: v_dual_sub_f32 v113, v44, v45
	v_dual_add_f32 v90, v43, v46 :: v_dual_add_f32 v39, v48, v39
	v_add_f32_e32 v92, v95, v101
	v_sub_f32_e32 v96, v43, v46
	v_sub_f32_e32 v98, v95, v101
	v_dual_add_f32 v48, v49, v89 :: v_dual_mul_f32 v119, 0xbf7d64f0, v54
	v_mul_f32_e32 v49, 0xbf0a6770, v54
	v_mul_f32_e32 v89, 0xbf0a6770, v38
	v_dual_mul_f32 v137, 0xbf0a6770, v88 :: v_dual_mul_f32 v138, 0xbf0a6770, v63
	v_dual_add_f32 v102, v97, v99 :: v_dual_mul_f32 v117, 0xbf68dda4, v54
	v_dual_mul_f32 v120, 0xbf7d64f0, v38 :: v_dual_mul_f32 v131, 0xbf7d64f0, v88
	v_dual_mul_f32 v121, 0xbf4178ce, v54 :: v_dual_mul_f32 v126, 0xbf4178ce, v57
	v_mul_f32_e32 v122, 0xbf4178ce, v38
	v_dual_mul_f32 v54, 0xbe903f40, v54 :: v_dual_mul_f32 v147, 0xbe903f40, v115
	v_dual_mul_f32 v123, 0xbf68dda4, v58 :: v_dual_mul_f32 v124, 0xbf68dda4, v57
	;; [unrolled: 1-line block ×4, first 2 shown]
	v_mul_f32_e32 v57, 0x3f0a6770, v57
	v_dual_mul_f32 v139, 0xbf4178ce, v98 :: v_dual_mul_f32 v140, 0xbf4178ce, v96
	v_dual_mul_f32 v141, 0x3f7d64f0, v98 :: v_dual_mul_f32 v142, 0x3f7d64f0, v96
	;; [unrolled: 1-line block ×4, first 2 shown]
	v_dual_mul_f32 v96, 0x3f68dda4, v96 :: v_dual_add_f32 v39, v39, v42
	v_dual_add_f32 v42, v48, v91 :: v_dual_fmamk_f32 v91, v53, 0x3f575c64, v89
	v_mul_f32_e32 v118, 0xbf68dda4, v38
	v_fma_f32 v48, 0x3f575c64, v51, -v49
	v_dual_fmac_f32 v49, 0x3f575c64, v51 :: v_dual_fmamk_f32 v176, v62, 0x3f575c64, v138
	v_mul_f32_e32 v38, 0xbe903f40, v38
	v_mul_f32_e32 v125, 0xbf4178ce, v58
	v_dual_mul_f32 v58, 0x3f0a6770, v58 :: v_dual_mul_f32 v149, 0x3f0a6770, v115
	v_mul_f32_e32 v132, 0xbf7d64f0, v63
	v_dual_mul_f32 v133, 0x3e903f40, v88 :: v_dual_mul_f32 v134, 0x3e903f40, v63
	v_dual_mul_f32 v135, 0x3f68dda4, v88 :: v_dual_mul_f32 v136, 0x3f68dda4, v63
	;; [unrolled: 1-line block ×5, first 2 shown]
	v_dual_mul_f32 v115, 0xbf7d64f0, v115 :: v_dual_add_f32 v48, v36, v48
	v_fma_f32 v89, 0x3f575c64, v53, -v89
	v_fma_f32 v155, 0x3ed4b147, v51, -v117
	v_dual_mul_f32 v154, 0x3f68dda4, v113 :: v_dual_add_f32 v39, v39, v43
	v_fmac_f32_e32 v117, 0x3ed4b147, v51
	v_fma_f32 v157, 0xbe11bafb, v51, -v119
	v_dual_fmamk_f32 v158, v53, 0xbe11bafb, v120 :: v_dual_fmac_f32 v119, 0xbe11bafb, v51
	v_mul_f32_e32 v148, 0xbe903f40, v113
	v_fma_f32 v120, 0xbe11bafb, v53, -v120
	v_fma_f32 v159, 0xbf27a4f4, v51, -v121
	v_mul_f32_e32 v150, 0x3f0a6770, v113
	v_mul_f32_e32 v113, 0xbf7d64f0, v113
	v_dual_fmamk_f32 v160, v53, 0xbf27a4f4, v122 :: v_dual_fmac_f32 v121, 0xbf27a4f4, v51
	v_fma_f32 v122, 0xbf27a4f4, v53, -v122
	v_fma_f32 v161, 0xbf75a155, v51, -v54
	v_fmac_f32_e32 v54, 0xbf75a155, v51
	v_add_f32_e32 v91, v37, v91
	v_fmamk_f32 v156, v53, 0x3ed4b147, v118
	v_fma_f32 v118, 0x3ed4b147, v53, -v118
	v_dual_add_f32 v49, v36, v49 :: v_dual_fmamk_f32 v162, v53, 0xbf75a155, v38
	v_fma_f32 v38, 0xbf75a155, v53, -v38
	v_dual_fmamk_f32 v53, v56, 0x3ed4b147, v124 :: v_dual_add_f32 v42, v42, v95
	v_fma_f32 v51, 0x3ed4b147, v55, -v123
	v_dual_fmac_f32 v123, 0x3ed4b147, v55 :: v_dual_fmamk_f32 v174, v62, 0x3ed4b147, v136
	v_fma_f32 v124, 0x3ed4b147, v56, -v124
	v_fma_f32 v163, 0xbf27a4f4, v55, -v125
	v_dual_fmamk_f32 v164, v56, 0xbf27a4f4, v126 :: v_dual_fmac_f32 v125, 0xbf27a4f4, v55
	v_fma_f32 v126, 0xbf27a4f4, v56, -v126
	v_fma_f32 v165, 0xbf75a155, v55, -v127
	v_dual_fmamk_f32 v166, v56, 0xbf75a155, v128 :: v_dual_fmac_f32 v127, 0xbf75a155, v55
	v_fma_f32 v128, 0xbf75a155, v56, -v128
	v_fma_f32 v167, 0xbe11bafb, v55, -v129
	v_dual_fmamk_f32 v168, v56, 0xbe11bafb, v130 :: v_dual_fmac_f32 v129, 0xbe11bafb, v55
	v_fma_f32 v130, 0xbe11bafb, v56, -v130
	v_fma_f32 v169, 0x3f575c64, v55, -v58
	v_dual_fmamk_f32 v170, v56, 0x3f575c64, v57 :: v_dual_add_f32 v89, v37, v89
	v_fmac_f32_e32 v58, 0x3f575c64, v55
	v_fma_f32 v55, 0x3f575c64, v56, -v57
	v_fma_f32 v56, 0xbe11bafb, v59, -v131
	v_fmamk_f32 v57, v62, 0xbe11bafb, v132
	v_dual_fmac_f32 v131, 0xbe11bafb, v59 :: v_dual_fmamk_f32 v180, v92, 0xbe11bafb, v142
	v_fma_f32 v132, 0xbe11bafb, v62, -v132
	v_fma_f32 v171, 0xbf75a155, v59, -v133
	v_dual_fmamk_f32 v172, v62, 0xbf75a155, v134 :: v_dual_fmac_f32 v133, 0xbf75a155, v59
	v_fma_f32 v134, 0xbf75a155, v62, -v134
	v_fma_f32 v173, 0x3ed4b147, v59, -v135
	v_dual_fmac_f32 v135, 0x3ed4b147, v59 :: v_dual_fmamk_f32 v186, v92, 0x3ed4b147, v96
	v_fma_f32 v136, 0x3ed4b147, v62, -v136
	v_fma_f32 v175, 0x3f575c64, v59, -v137
	v_dual_fmac_f32 v137, 0x3f575c64, v59 :: v_dual_fmamk_f32 v182, v92, 0x3f575c64, v144
	v_fma_f32 v138, 0x3f575c64, v62, -v138
	v_fma_f32 v177, 0xbf27a4f4, v59, -v88
	v_fmamk_f32 v178, v62, 0xbf27a4f4, v63
	v_fmac_f32_e32 v88, 0xbf27a4f4, v59
	v_fma_f32 v59, 0xbf27a4f4, v62, -v63
	v_fma_f32 v62, 0xbf27a4f4, v90, -v139
	v_fmac_f32_e32 v139, 0xbf27a4f4, v90
	v_fmamk_f32 v63, v92, 0xbf27a4f4, v140
	v_fma_f32 v140, 0xbf27a4f4, v92, -v140
	v_fma_f32 v179, 0xbe11bafb, v90, -v141
	v_dual_fmac_f32 v141, 0xbe11bafb, v90 :: v_dual_add_f32 v120, v37, v120
	v_fma_f32 v142, 0xbe11bafb, v92, -v142
	v_fma_f32 v181, 0x3f575c64, v90, -v143
	v_fmac_f32_e32 v143, 0x3f575c64, v90
	v_fma_f32 v144, 0x3f575c64, v92, -v144
	v_fma_f32 v183, 0xbf75a155, v90, -v145
	v_dual_fmamk_f32 v184, v92, 0xbf75a155, v146 :: v_dual_add_f32 v43, v37, v162
	v_fmac_f32_e32 v145, 0xbf75a155, v90
	v_fma_f32 v146, 0xbf75a155, v92, -v146
	v_fma_f32 v185, 0x3ed4b147, v90, -v98
	v_fmac_f32_e32 v98, 0x3ed4b147, v90
	v_fma_f32 v90, 0x3ed4b147, v92, -v96
	v_fma_f32 v92, 0xbf75a155, v100, -v147
	v_fmac_f32_e32 v147, 0xbf75a155, v100
	v_fma_f32 v187, 0x3f575c64, v100, -v149
	v_dual_fmac_f32 v149, 0x3f575c64, v100 :: v_dual_add_f32 v118, v37, v118
	v_fma_f32 v189, 0xbf27a4f4, v100, -v151
	v_dual_fmac_f32 v151, 0xbf27a4f4, v100 :: v_dual_fmamk_f32 v192, v102, 0xbf27a4f4, v152
	v_fma_f32 v190, 0x3ed4b147, v100, -v153
	v_fmac_f32_e32 v153, 0x3ed4b147, v100
	v_fma_f32 v191, 0xbe11bafb, v100, -v115
	v_dual_fmac_f32 v115, 0xbe11bafb, v100 :: v_dual_add_f32 v100, v36, v155
	v_fma_f32 v152, 0xbf27a4f4, v102, -v152
	v_fmamk_f32 v193, v102, 0x3ed4b147, v154
	v_fma_f32 v154, 0x3ed4b147, v102, -v154
	v_dual_fmamk_f32 v194, v102, 0xbe11bafb, v113 :: v_dual_add_f32 v155, v36, v157
	v_fma_f32 v113, 0xbe11bafb, v102, -v113
	v_add_f32_e32 v117, v36, v117
	v_dual_add_f32 v119, v36, v119 :: v_dual_fmamk_f32 v96, v102, 0xbf75a155, v148
	v_fma_f32 v148, 0xbf75a155, v102, -v148
	v_dual_add_f32 v157, v36, v159 :: v_dual_fmamk_f32 v188, v102, 0x3f575c64, v150
	v_add_f32_e32 v121, v36, v121
	v_fma_f32 v150, 0x3f575c64, v102, -v150
	v_add_f32_e32 v102, v37, v156
	v_add_f32_e32 v156, v37, v158
	;; [unrolled: 1-line block ×3, first 2 shown]
	v_dual_add_f32 v122, v37, v122 :: v_dual_add_f32 v159, v36, v161
	v_add_f32_e32 v37, v37, v38
	v_add_f32_e32 v36, v36, v54
	v_dual_add_f32 v38, v39, v44 :: v_dual_add_f32 v39, v42, v97
	v_add_f32_e32 v44, v53, v91
	v_dual_add_f32 v42, v51, v48 :: v_dual_add_f32 v53, v164, v102
	v_add_f32_e32 v48, v123, v49
	v_add_f32_e32 v49, v124, v89
	;; [unrolled: 1-line block ×3, first 2 shown]
	v_dual_add_f32 v51, v163, v100 :: v_dual_add_f32 v54, v125, v117
	v_add_f32_e32 v95, v166, v156
	v_dual_add_f32 v91, v165, v155 :: v_dual_add_f32 v100, v128, v120
	v_dual_add_f32 v97, v127, v119 :: v_dual_add_f32 v118, v129, v121
	;; [unrolled: 1-line block ×5, first 2 shown]
	v_add_f32_e32 v120, v169, v159
	v_dual_add_f32 v43, v170, v43 :: v_dual_add_f32 v42, v56, v42
	v_dual_add_f32 v36, v58, v36 :: v_dual_add_f32 v37, v55, v37
	;; [unrolled: 1-line block ×3, first 2 shown]
	v_add_f32_e32 v49, v171, v51
	v_dual_add_f32 v51, v172, v53 :: v_dual_add_f32 v56, v174, v95
	v_dual_add_f32 v53, v133, v54 :: v_dual_add_f32 v54, v134, v89
	;; [unrolled: 1-line block ×5, first 2 shown]
	v_add_f32_e32 v39, v39, v101
	v_dual_add_f32 v57, v135, v97 :: v_dual_add_f32 v36, v88, v36
	v_dual_add_f32 v89, v175, v102 :: v_dual_add_f32 v46, v140, v48
	;; [unrolled: 1-line block ×4, first 2 shown]
	v_add_f32_e32 v43, v178, v43
	v_add_f32_e32 v37, v59, v37
	s_delay_alu instid0(VALU_DEP_3)
	v_dual_add_f32 v45, v139, v45 :: v_dual_add_f32 v88, v185, v99
	v_add_f32_e32 v49, v180, v51
	v_add_f32_e32 v62, v145, v95
	v_dual_add_f32 v51, v141, v53 :: v_dual_add_f32 v112, v39, v112
	v_dual_add_f32 v53, v142, v54 :: v_dual_add_f32 v54, v181, v55
	v_add_f32_e32 v55, v182, v56
	v_dual_add_f32 v95, v38, v47 :: v_dual_add_f32 v56, v143, v57
	v_dual_add_f32 v57, v144, v58 :: v_dual_add_f32 v90, v90, v37
	;; [unrolled: 1-line block ×4, first 2 shown]
	v_add_f32_e32 v102, v150, v53
	v_dual_add_f32 v63, v146, v97 :: v_dual_add_f32 v100, v148, v46
	v_dual_add_f32 v91, v98, v36 :: v_dual_add_f32 v98, v152, v57
	;; [unrolled: 1-line block ×4, first 2 shown]
	v_add_f32_e32 v42, v189, v54
	v_add_f32_e32 v46, v153, v62
	;; [unrolled: 1-line block ×5, first 2 shown]
	v_dual_add_f32 v37, v96, v44 :: v_dual_add_f32 v44, v190, v58
	v_add_f32_e32 v45, v193, v59
	v_dual_add_f32 v49, v194, v89 :: v_dual_add_f32 v50, v115, v91
	v_add_f32_e32 v101, v149, v51
	v_add_f32_e32 v47, v154, v63
	;; [unrolled: 1-line block ×4, first 2 shown]
	s_barrier_signal -1
	s_barrier_wait -1
	global_inv scope:SCOPE_SE
	ds_store_2addr_b64 v108, v[38:39], v[42:43] offset0:66 offset1:99
	v_add_f32_e32 v38, v53, v52
	v_add_f32_e32 v39, v54, v116
	ds_store_2addr_b64 v108, v[44:45], v[48:49] offset0:132 offset1:165
	ds_store_2addr_b64 v108, v[50:51], v[46:47] offset0:198 offset1:231
	;; [unrolled: 1-line block ×3, first 2 shown]
	ds_store_b64 v108, v[99:100] offset:2640
	ds_store_2addr_b64 v108, v[38:39], v[36:37] offset1:33
	global_wb scope:SCOPE_SE
	s_wait_dscnt 0x0
	s_barrier_signal -1
	s_barrier_wait -1
	global_inv scope:SCOPE_SE
	ds_load_2addr_b64 v[48:51], v104 offset1:132
	ds_load_2addr_b64 v[56:59], v40 offset0:107 offset1:239
	ds_load_2addr_b64 v[52:55], v60 offset0:86 offset1:218
	;; [unrolled: 1-line block ×3, first 2 shown]
	v_add_co_u32 v95, s0, s8, v104
	s_wait_alu 0xf1ff
	v_add_co_ci_u32_e64 v96, null, s9, 0, s0
	v_cmp_gt_u16_e64 s0, 0x63, v103
	s_delay_alu instid0(VALU_DEP_1)
	s_and_saveexec_b32 s1, s0
	s_cbranch_execz .LBB0_7
; %bb.6:
	ds_load_b64 v[97:98], v104 offset:2112
	ds_load_b64 v[101:102], v104 offset:5016
	;; [unrolled: 1-line block ×4, first 2 shown]
.LBB0_7:
	s_wait_alu 0xfffe
	s_or_b32 exec_lo, exec_lo, s1
	v_mad_co_u64_u32 v[36:37], null, v103, 24, s[10:11]
	s_clause 0x3
	global_load_b128 v[44:47], v[36:37], off offset:2816
	global_load_b64 v[91:92], v[36:37], off offset:2832
	global_load_b128 v[40:43], v[36:37], off offset:5984
	global_load_b64 v[89:90], v[36:37], off offset:6000
	s_wait_loadcnt_dscnt 0x302
	v_dual_mul_f32 v113, v56, v45 :: v_dual_add_nc_u32 v36, 0xffffff9d, v103
	s_delay_alu instid0(VALU_DEP_1) | instskip(SKIP_3) | instid1(VALU_DEP_3)
	v_cndmask_b32_e64 v36, v36, v87, s0
	s_wait_loadcnt_dscnt 0x0
	v_dual_mul_f32 v120, v55, v43 :: v_dual_mul_f32 v123, v62, v90
	v_dual_mul_f32 v112, v57, v45 :: v_dual_mul_f32 v115, v52, v47
	v_mul_i32_i24_e32 v37, 24, v36
	v_mul_hi_i32_i24_e32 v36, 24, v36
	v_dual_mul_f32 v114, v53, v47 :: v_dual_mul_f32 v117, v60, v92
	v_dual_mul_f32 v116, v61, v92 :: v_dual_mul_f32 v119, v58, v41
	s_delay_alu instid0(VALU_DEP_4)
	v_add_co_u32 v87, s1, s10, v37
	s_wait_alu 0xf1ff
	v_add_co_ci_u32_e64 v88, s1, s11, v36, s1
	v_dual_mul_f32 v118, v59, v41 :: v_dual_mul_f32 v121, v54, v43
	s_clause 0x1
	global_load_b128 v[36:39], v[87:88], off offset:2816
	global_load_b64 v[87:88], v[87:88], off offset:2832
	v_dual_mul_f32 v122, v63, v90 :: v_dual_fmac_f32 v113, v57, v44
	v_fma_f32 v54, v54, v42, -v120
	v_fma_f32 v56, v56, v44, -v112
	;; [unrolled: 1-line block ×3, first 2 shown]
	v_fmac_f32_e32 v115, v53, v46
	v_fma_f32 v53, v60, v91, -v116
	v_dual_fmac_f32 v117, v61, v91 :: v_dual_sub_f32 v112, v50, v54
	v_fma_f32 v57, v58, v40, -v118
	v_fmac_f32_e32 v119, v59, v40
	v_fmac_f32_e32 v121, v55, v42
	v_fma_f32 v55, v62, v89, -v122
	v_dual_fmac_f32 v123, v63, v89 :: v_dual_sub_f32 v60, v48, v52
	v_sub_f32_e32 v58, v113, v117
	v_fma_f32 v122, v50, 2.0, -v112
	s_delay_alu instid0(VALU_DEP_4) | instskip(NEXT) | instid1(VALU_DEP_4)
	v_sub_f32_e32 v59, v57, v55
	v_fma_f32 v120, v48, 2.0, -v60
	s_delay_alu instid0(VALU_DEP_4) | instskip(SKIP_1) | instid1(VALU_DEP_4)
	v_sub_f32_e32 v54, v60, v58
	v_fma_f32 v113, v113, 2.0, -v58
	v_fma_f32 v50, v57, 2.0, -v59
	s_delay_alu instid0(VALU_DEP_3)
	v_fma_f32 v60, v60, 2.0, -v54
	s_wait_loadcnt 0x1
	v_dual_mul_f32 v63, v102, v37 :: v_dual_mul_f32 v116, v99, v39
	v_mul_f32_e32 v52, v101, v37
	v_dual_sub_f32 v61, v49, v115 :: v_dual_sub_f32 v114, v51, v121
	s_wait_loadcnt 0x0
	v_dual_mul_f32 v115, v100, v39 :: v_dual_mul_f32 v118, v93, v88
	s_delay_alu instid0(VALU_DEP_3) | instskip(SKIP_3) | instid1(VALU_DEP_4)
	v_dual_fmac_f32 v52, v102, v36 :: v_dual_sub_f32 v53, v56, v53
	v_dual_sub_f32 v62, v119, v123 :: v_dual_mul_f32 v117, v94, v88
	v_fma_f32 v121, v49, 2.0, -v61
	v_fma_f32 v123, v51, 2.0, -v114
	;; [unrolled: 1-line block ×3, first 2 shown]
	s_delay_alu instid0(VALU_DEP_4)
	v_dual_sub_f32 v56, v112, v62 :: v_dual_add_f32 v55, v61, v53
	v_fmac_f32_e32 v116, v100, v38
	v_fma_f32 v51, v119, 2.0, -v62
	v_fma_f32 v48, v101, v36, -v63
	v_fma_f32 v53, v99, v38, -v115
	;; [unrolled: 1-line block ×3, first 2 shown]
	v_fmac_f32_e32 v118, v94, v87
	v_dual_add_f32 v57, v114, v59 :: v_dual_sub_f32 v58, v120, v49
	v_dual_sub_f32 v59, v121, v113 :: v_dual_sub_f32 v62, v122, v50
	v_sub_f32_e32 v63, v123, v51
	v_dual_sub_f32 v49, v97, v53 :: v_dual_sub_f32 v50, v98, v116
	v_sub_f32_e32 v51, v48, v93
	v_sub_f32_e32 v53, v52, v118
	v_fma_f32 v61, v61, 2.0, -v55
	v_fma_f32 v99, v112, 2.0, -v56
	;; [unrolled: 1-line block ×3, first 2 shown]
	v_add_f32_e32 v94, v50, v51
	v_fma_f32 v102, v121, 2.0, -v59
	v_fma_f32 v112, v122, 2.0, -v62
	;; [unrolled: 1-line block ×3, first 2 shown]
	v_sub_f32_e32 v93, v49, v53
	v_fma_f32 v100, v114, 2.0, -v57
	ds_store_b64 v104, v[60:61] offset:2904
	ds_store_b64 v104, v[58:59] offset:5808
	;; [unrolled: 1-line block ×3, first 2 shown]
	ds_store_2addr_b64 v104, v[101:102], v[112:113] offset1:132
	ds_store_b64 v104, v[99:100] offset:3960
	ds_store_b64 v104, v[62:63] offset:6864
	;; [unrolled: 1-line block ×3, first 2 shown]
	s_and_saveexec_b32 s1, s0
	s_cbranch_execz .LBB0_9
; %bb.8:
	v_fma_f32 v54, v98, 2.0, -v50
	v_fma_f32 v52, v52, 2.0, -v53
	;; [unrolled: 1-line block ×6, first 2 shown]
	v_sub_f32_e32 v52, v54, v52
	s_delay_alu instid0(VALU_DEP_4) | instskip(NEXT) | instid1(VALU_DEP_2)
	v_sub_f32_e32 v51, v53, v48
	v_fma_f32 v54, v54, 2.0, -v52
	s_delay_alu instid0(VALU_DEP_2)
	v_fma_f32 v53, v53, 2.0, -v51
	ds_store_b64 v104, v[53:54] offset:2112
	ds_store_b64 v104, v[49:50] offset:5016
	ds_store_b64 v104, v[51:52] offset:7920
	ds_store_b64 v104, v[93:94] offset:10824
.LBB0_9:
	s_wait_alu 0xfffe
	s_or_b32 exec_lo, exec_lo, s1
	s_add_nc_u64 s[8:9], s[8:9], 0x2d60
	global_wb scope:SCOPE_SE
	s_wait_dscnt 0x0
	s_barrier_signal -1
	s_barrier_wait -1
	global_inv scope:SCOPE_SE
	s_clause 0xa
	global_load_b64 v[52:53], v[95:96], off offset:11616
	global_load_b64 v[54:55], v104, s[8:9] offset:1056
	global_load_b64 v[95:96], v104, s[8:9] offset:2112
	;; [unrolled: 1-line block ×10, first 2 shown]
	ds_load_2addr_b64 v[48:51], v104 offset1:132
	v_add_nc_u32_e32 v102, 0x800, v104
	s_wait_loadcnt_dscnt 0xa00
	v_dual_mul_f32 v57, v49, v53 :: v_dual_add_nc_u32 v128, 0x1800, v104
	s_wait_loadcnt 0x9
	v_mul_f32_e32 v58, v51, v55
	v_dual_mul_f32 v56, v48, v53 :: v_dual_mul_f32 v53, v50, v55
	s_delay_alu instid0(VALU_DEP_3) | instskip(NEXT) | instid1(VALU_DEP_2)
	v_fma_f32 v55, v48, v52, -v57
	v_dual_fmac_f32 v56, v49, v52 :: v_dual_fmac_f32 v53, v51, v54
	s_delay_alu instid0(VALU_DEP_4)
	v_fma_f32 v52, v50, v54, -v58
	ds_store_2addr_b64 v104, v[55:56], v[52:53] offset1:132
	ds_load_2addr_b64 v[48:51], v102 offset0:8 offset1:140
	v_add_nc_u32_e32 v101, 0x1000, v104
	s_wait_loadcnt_dscnt 0x700
	v_dual_mul_f32 v130, v51, v98 :: v_dual_add_nc_u32 v129, 0x2000, v104
	ds_load_2addr_b64 v[52:55], v101 offset0:16 offset1:148
	v_mul_f32_e32 v126, v49, v96
	v_dual_mul_f32 v127, v48, v96 :: v_dual_mul_f32 v96, v50, v98
	ds_load_2addr_b64 v[56:59], v128 offset0:24 offset1:156
	ds_load_2addr_b64 v[60:63], v129 offset0:32 offset1:164
	ds_load_b64 v[124:125], v104 offset:10560
	v_fmac_f32_e32 v96, v51, v97
	s_wait_loadcnt_dscnt 0x503
	v_dual_mul_f32 v132, v55, v113 :: v_dual_mul_f32 v131, v53, v100
	s_wait_loadcnt_dscnt 0x201
	v_dual_mul_f32 v98, v52, v100 :: v_dual_mul_f32 v135, v61, v119
	v_dual_mul_f32 v100, v54, v113 :: v_dual_mul_f32 v133, v57, v115
	;; [unrolled: 1-line block ×3, first 2 shown]
	v_mul_f32_e32 v115, v58, v117
	s_wait_loadcnt 0x1
	v_dual_mul_f32 v117, v60, v119 :: v_dual_mul_f32 v136, v63, v121
	s_wait_loadcnt_dscnt 0x0
	v_mul_f32_e32 v137, v125, v123
	v_dual_mul_f32 v119, v62, v121 :: v_dual_fmac_f32 v98, v53, v99
	v_mul_f32_e32 v121, v124, v123
	v_fma_f32 v126, v48, v95, -v126
	v_dual_fmac_f32 v127, v49, v95 :: v_dual_fmac_f32 v100, v55, v112
	v_fma_f32 v95, v50, v97, -v130
	v_fma_f32 v97, v52, v99, -v131
	;; [unrolled: 1-line block ×4, first 2 shown]
	v_fmac_f32_e32 v113, v57, v114
	v_fma_f32 v114, v58, v116, -v134
	v_fmac_f32_e32 v115, v59, v116
	v_fma_f32 v116, v60, v118, -v135
	;; [unrolled: 2-line block ×4, first 2 shown]
	v_fmac_f32_e32 v121, v125, v122
	ds_store_2addr_b64 v102, v[126:127], v[95:96] offset0:8 offset1:140
	ds_store_2addr_b64 v101, v[97:98], v[99:100] offset0:16 offset1:148
	;; [unrolled: 1-line block ×4, first 2 shown]
	ds_store_b64 v104, v[120:121] offset:10560
	global_wb scope:SCOPE_SE
	s_wait_dscnt 0x0
	s_barrier_signal -1
	s_barrier_wait -1
	global_inv scope:SCOPE_SE
	ds_load_2addr_b64 v[56:59], v104 offset1:132
	ds_load_b64 v[95:96], v104 offset:10560
	ds_load_2addr_b64 v[97:100], v102 offset0:8 offset1:140
	ds_load_2addr_b64 v[48:51], v129 offset0:32 offset1:164
	;; [unrolled: 1-line block ×4, first 2 shown]
	v_add_nc_u32_e32 v114, 0x1c00, v104
	global_wb scope:SCOPE_SE
	s_wait_dscnt 0x0
	s_barrier_signal -1
	s_barrier_wait -1
	global_inv scope:SCOPE_SE
	v_dual_add_f32 v112, v56, v58 :: v_dual_add_f32 v113, v57, v59
	v_add_f32_e32 v116, v96, v59
	v_add_f32_e32 v118, v51, v98
	v_dual_sub_f32 v120, v98, v51 :: v_dual_add_f32 v115, v95, v58
	v_add_f32_e32 v122, v49, v100
	v_dual_sub_f32 v58, v58, v95 :: v_dual_sub_f32 v59, v59, v96
	v_sub_f32_e32 v124, v100, v49
	v_dual_add_f32 v117, v50, v97 :: v_dual_sub_f32 v128, v61, v55
	v_dual_sub_f32 v119, v97, v50 :: v_dual_add_f32 v126, v55, v61
	v_dual_add_f32 v125, v54, v60 :: v_dual_add_f32 v98, v113, v98
	v_dual_add_f32 v129, v52, v62 :: v_dual_mul_f32 v134, 0x3ed4b147, v116
	v_dual_add_f32 v97, v112, v97 :: v_dual_mul_f32 v136, 0xbe11bafb, v116
	v_mul_f32_e32 v113, 0x3f575c64, v116
	v_mul_f32_e32 v138, 0xbf27a4f4, v116
	;; [unrolled: 1-line block ×4, first 2 shown]
	v_dual_add_f32 v121, v48, v99 :: v_dual_sub_f32 v132, v63, v53
	v_dual_sub_f32 v127, v60, v54 :: v_dual_mul_f32 v112, 0xbf0a6770, v59
	v_dual_mul_f32 v133, 0xbf68dda4, v59 :: v_dual_add_f32 v98, v98, v100
	v_mul_f32_e32 v135, 0xbf7d64f0, v59
	v_add_f32_e32 v97, v97, v99
	v_mul_f32_e32 v141, 0xbf4178ce, v120
	v_fmamk_f32 v178, v58, 0x3e903f40, v116
	v_dual_mul_f32 v144, 0xbf75a155, v118 :: v_dual_fmamk_f32 v181, v117, 0xbf75a155, v143
	v_mul_f32_e32 v149, 0x3e903f40, v124
	v_dual_sub_f32 v123, v99, v48 :: v_dual_add_f32 v130, v53, v63
	v_mul_f32_e32 v137, 0xbf4178ce, v59
	v_mul_f32_e32 v139, 0xbf68dda4, v120
	v_dual_mul_f32 v145, 0x3f7d64f0, v120 :: v_dual_fmamk_f32 v174, v58, 0x3f7d64f0, v136
	v_dual_mul_f32 v120, 0x3f0a6770, v120 :: v_dual_add_f32 v61, v98, v61
	s_delay_alu instid0(VALU_DEP_2)
	v_dual_mul_f32 v148, 0xbe11bafb, v122 :: v_dual_fmamk_f32 v183, v117, 0xbe11bafb, v145
	v_dual_mul_f32 v152, 0x3ed4b147, v122 :: v_dual_fmamk_f32 v171, v115, 0x3ed4b147, v133
	;; [unrolled: 1-line block ×3, first 2 shown]
	v_mul_f32_e32 v159, 0xbf0a6770, v128
	v_dual_mul_f32 v161, 0xbe903f40, v128 :: v_dual_fmamk_f32 v182, v119, 0xbe903f40, v144
	v_mul_f32_e32 v165, 0x3f0a6770, v132
	v_mul_f32_e32 v169, 0x3f68dda4, v132
	v_fma_f32 v112, 0x3f575c64, v115, -v112
	v_fmamk_f32 v176, v58, 0x3f4178ce, v138
	v_fmac_f32_e32 v138, 0xbf4178ce, v58
	v_fmamk_f32 v179, v117, 0xbf27a4f4, v141
	v_fmac_f32_e32 v144, 0x3e903f40, v119
	v_dual_mul_f32 v150, 0xbf75a155, v122 :: v_dual_fmamk_f32 v187, v121, 0xbf75a155, v149
	v_mul_f32_e32 v122, 0xbf27a4f4, v122
	v_mul_f32_e32 v163, 0xbe903f40, v132
	;; [unrolled: 1-line block ×4, first 2 shown]
	v_dual_mul_f32 v146, 0xbe11bafb, v118 :: v_dual_fmamk_f32 v173, v115, 0xbe11bafb, v135
	v_fma_f32 v135, 0xbe11bafb, v115, -v135
	v_dual_sub_f32 v131, v62, v52 :: v_dual_mul_f32 v140, 0x3ed4b147, v118
	v_dual_mul_f32 v59, 0xbe903f40, v59 :: v_dual_fmac_f32 v116, 0xbe903f40, v58
	v_dual_mul_f32 v147, 0xbf7d64f0, v124 :: v_dual_fmac_f32 v136, 0xbf7d64f0, v58
	v_dual_mul_f32 v151, 0x3f68dda4, v124 :: v_dual_fmamk_f32 v172, v58, 0x3f68dda4, v134
	v_mul_f32_e32 v153, 0xbf0a6770, v124
	v_mul_f32_e32 v124, 0xbf4178ce, v124
	v_dual_mul_f32 v142, 0xbf27a4f4, v118 :: v_dual_fmamk_f32 v175, v115, 0xbf27a4f4, v137
	v_mul_f32_e32 v118, 0x3f575c64, v118
	s_delay_alu instid0(VALU_DEP_3)
	v_dual_mul_f32 v156, 0xbf27a4f4, v126 :: v_dual_fmamk_f32 v193, v121, 0xbf27a4f4, v124
	v_mul_f32_e32 v158, 0xbe11bafb, v126
	v_dual_mul_f32 v160, 0x3f575c64, v126 :: v_dual_fmamk_f32 v185, v117, 0x3f575c64, v120
	v_dual_mul_f32 v162, 0xbf75a155, v126 :: v_dual_fmamk_f32 v199, v125, 0xbf75a155, v161
	;; [unrolled: 1-line block ×3, first 2 shown]
	v_fmamk_f32 v100, v58, 0x3f0a6770, v113
	v_fmac_f32_e32 v113, 0xbf0a6770, v58
	v_fmac_f32_e32 v134, 0xbf68dda4, v58
	v_fma_f32 v137, 0xbf27a4f4, v115, -v137
	v_fmamk_f32 v58, v117, 0x3ed4b147, v139
	v_fma_f32 v139, 0x3ed4b147, v117, -v139
	v_fma_f32 v141, 0xbf27a4f4, v117, -v141
	;; [unrolled: 1-line block ×5, first 2 shown]
	v_dual_fmamk_f32 v120, v123, 0x3f7d64f0, v148 :: v_dual_add_f32 v135, v56, v135
	v_add_f32_e32 v60, v97, v60
	v_fmamk_f32 v192, v123, 0x3f0a6770, v154
	v_fmac_f32_e32 v154, 0xbf0a6770, v123
	v_fmamk_f32 v197, v125, 0x3f575c64, v159
	v_add_f32_e32 v97, v56, v99
	v_add_f32_e32 v99, v56, v112
	v_dual_add_f32 v112, v56, v171 :: v_dual_mul_f32 v155, 0xbf4178ce, v128
	v_mul_f32_e32 v157, 0x3f7d64f0, v128
	v_mul_f32_e32 v128, 0x3f68dda4, v128
	v_fma_f32 v133, 0x3ed4b147, v115, -v133
	v_fmamk_f32 v177, v115, 0xbf75a155, v59
	v_fma_f32 v59, 0xbf75a155, v115, -v59
	v_fmamk_f32 v115, v119, 0x3f68dda4, v140
	v_fmac_f32_e32 v140, 0xbf68dda4, v119
	v_fmamk_f32 v180, v119, 0x3f4178ce, v142
	v_fmac_f32_e32 v142, 0xbf4178ce, v119
	;; [unrolled: 2-line block ×3, first 2 shown]
	v_fmamk_f32 v186, v119, 0xbf0a6770, v118
	v_dual_mul_f32 v166, 0x3f575c64, v130 :: v_dual_fmamk_f32 v191, v121, 0x3f575c64, v153
	v_dual_fmac_f32 v118, 0x3f0a6770, v119 :: v_dual_add_f32 v137, v56, v137
	v_fmamk_f32 v119, v121, 0xbe11bafb, v147
	v_fma_f32 v147, 0xbe11bafb, v121, -v147
	v_fmamk_f32 v188, v123, 0xbe903f40, v150
	v_mul_f32_e32 v164, 0xbf75a155, v130
	v_fma_f32 v149, 0xbf75a155, v121, -v149
	v_fmac_f32_e32 v150, 0x3e903f40, v123
	v_dual_fmamk_f32 v190, v123, 0xbf68dda4, v152 :: v_dual_add_f32 v171, v56, v175
	v_fma_f32 v151, 0x3ed4b147, v121, -v151
	v_fmac_f32_e32 v152, 0x3f68dda4, v123
	v_fma_f32 v153, 0x3f575c64, v121, -v153
	v_fma_f32 v121, 0xbf27a4f4, v121, -v124
	v_fmamk_f32 v124, v127, 0x3f4178ce, v156
	v_fmamk_f32 v196, v127, 0xbf7d64f0, v158
	v_fmac_f32_e32 v158, 0x3f7d64f0, v127
	v_fmamk_f32 v198, v127, 0x3f0a6770, v160
	v_fmac_f32_e32 v160, 0xbf0a6770, v127
	;; [unrolled: 2-line block ×4, first 2 shown]
	v_fmamk_f32 v203, v129, 0x3f575c64, v165
	v_fma_f32 v165, 0x3f575c64, v129, -v165
	v_fmamk_f32 v207, v129, 0x3ed4b147, v169
	v_fma_f32 v169, 0x3ed4b147, v129, -v169
	v_add_f32_e32 v98, v57, v100
	v_fmac_f32_e32 v156, 0xbf4178ce, v127
	v_fmamk_f32 v127, v129, 0xbf75a155, v163
	v_fma_f32 v163, 0xbf75a155, v129, -v163
	v_add_f32_e32 v100, v57, v113
	v_dual_add_f32 v113, v57, v172 :: v_dual_fmamk_f32 v194, v123, 0x3f4178ce, v122
	v_fmac_f32_e32 v122, 0xbf4178ce, v123
	v_dual_fmamk_f32 v205, v129, 0xbf27a4f4, v167 :: v_dual_add_f32 v58, v58, v97
	v_fma_f32 v167, 0xbf27a4f4, v129, -v167
	v_fmamk_f32 v209, v129, 0xbe11bafb, v132
	v_fma_f32 v129, 0xbe11bafb, v129, -v132
	v_add_f32_e32 v132, v57, v134
	v_add_f32_e32 v134, v57, v174
	;; [unrolled: 1-line block ×4, first 2 shown]
	v_dual_add_f32 v174, v57, v178 :: v_dual_add_f32 v97, v179, v112
	v_add_f32_e32 v136, v57, v136
	v_dual_add_f32 v57, v57, v116 :: v_dual_mul_f32 v168, 0xbf27a4f4, v130
	v_dual_mul_f32 v170, 0x3ed4b147, v130 :: v_dual_fmamk_f32 v201, v125, 0x3ed4b147, v128
	v_dual_mul_f32 v130, 0xbe11bafb, v130 :: v_dual_fmamk_f32 v195, v125, 0xbe11bafb, v157
	s_delay_alu instid0(VALU_DEP_3)
	v_dual_add_f32 v57, v118, v57 :: v_dual_fmac_f32 v148, 0xbf7d64f0, v123
	v_fmamk_f32 v123, v125, 0xbf27a4f4, v155
	v_fma_f32 v155, 0xbf27a4f4, v125, -v155
	v_fma_f32 v157, 0xbe11bafb, v125, -v157
	;; [unrolled: 1-line block ×5, first 2 shown]
	v_fmamk_f32 v128, v131, 0x3e903f40, v164
	v_fmac_f32_e32 v164, 0xbe903f40, v131
	v_fmamk_f32 v204, v131, 0xbf0a6770, v166
	v_fmac_f32_e32 v166, 0x3f0a6770, v131
	v_fmamk_f32 v208, v131, 0xbf68dda4, v170
	v_dual_fmac_f32 v170, 0x3f68dda4, v131 :: v_dual_add_f32 v57, v122, v57
	v_fmamk_f32 v210, v131, 0x3f7d64f0, v130
	v_fmac_f32_e32 v130, 0xbf7d64f0, v131
	v_add_f32_e32 v116, v144, v136
	v_fmamk_f32 v206, v131, 0x3f4178ce, v168
	v_dual_fmac_f32 v168, 0xbf4178ce, v131 :: v_dual_add_f32 v131, v56, v133
	v_add_f32_e32 v133, v56, v173
	v_add_f32_e32 v173, v56, v177
	;; [unrolled: 1-line block ×3, first 2 shown]
	v_dual_add_f32 v59, v60, v62 :: v_dual_add_f32 v60, v61, v63
	v_add_f32_e32 v62, v139, v99
	v_add_f32_e32 v99, v141, v131
	;; [unrolled: 1-line block ×5, first 2 shown]
	v_dual_add_f32 v52, v59, v52 :: v_dual_add_f32 v53, v60, v53
	v_add_f32_e32 v112, v181, v133
	s_delay_alu instid0(VALU_DEP_4)
	v_dual_add_f32 v58, v119, v58 :: v_dual_add_f32 v59, v120, v61
	v_add_f32_e32 v60, v147, v62
	v_dual_add_f32 v98, v180, v113 :: v_dual_add_f32 v113, v182, v134
	v_add_f32_e32 v133, v145, v137
	v_dual_add_f32 v62, v187, v97 :: v_dual_add_f32 v97, v149, v99
	v_dual_add_f32 v99, v189, v112 :: v_dual_add_f32 v52, v52, v54
	;; [unrolled: 1-line block ×5, first 2 shown]
	v_add_f32_e32 v112, v151, v115
	v_add_f32_e32 v115, v191, v131
	;; [unrolled: 1-line block ×3, first 2 shown]
	v_dual_add_f32 v100, v142, v132 :: v_dual_add_f32 v117, v153, v133
	v_add_f32_e32 v56, v121, v56
	v_add_f32_e32 v121, v197, v99
	s_delay_alu instid0(VALU_DEP_4) | instskip(NEXT) | instid1(VALU_DEP_4)
	v_add_f32_e32 v61, v148, v63
	v_dual_add_f32 v63, v188, v98 :: v_dual_add_f32 v98, v150, v100
	v_dual_add_f32 v100, v190, v113 :: v_dual_add_f32 v113, v152, v116
	v_add_f32_e32 v135, v185, v173
	s_delay_alu instid0(VALU_DEP_4) | instskip(NEXT) | instid1(VALU_DEP_4)
	v_add_f32_e32 v59, v156, v61
	v_add_f32_e32 v61, v196, v63
	;; [unrolled: 1-line block ×4, first 2 shown]
	v_dual_add_f32 v132, v184, v172 :: v_dual_add_f32 v113, v199, v115
	v_dual_add_f32 v134, v146, v138 :: v_dual_add_f32 v119, v193, v135
	v_add_f32_e32 v124, v52, v48
	s_delay_alu instid0(VALU_DEP_3) | instskip(NEXT) | instid1(VALU_DEP_4)
	v_add_f32_e32 v116, v192, v132
	v_add_f32_e32 v58, v207, v113
	s_delay_alu instid0(VALU_DEP_4)
	v_add_f32_e32 v118, v154, v134
	v_add_f32_e32 v113, v130, v57
	;; [unrolled: 1-line block ×3, first 2 shown]
	v_dual_add_f32 v115, v200, v116 :: v_dual_add_f32 v136, v186, v174
	v_add_f32_e32 v122, v198, v100
	v_dual_add_f32 v116, v161, v117 :: v_dual_add_f32 v117, v162, v118
	v_add_f32_e32 v118, v201, v119
	s_delay_alu instid0(VALU_DEP_4)
	v_add_f32_e32 v120, v194, v136
	v_add_f32_e32 v112, v159, v112
	;; [unrolled: 1-line block ×14, first 2 shown]
	v_dual_add_f32 v63, v158, v98 :: v_dual_add_f32 v56, v167, v112
	s_delay_alu instid0(VALU_DEP_3) | instskip(SKIP_1) | instid1(VALU_DEP_3)
	v_dual_add_f32 v52, v203, v60 :: v_dual_add_f32 v97, v165, v62
	v_add_f32_e32 v60, v169, v116
	v_add_f32_e32 v98, v166, v63
	v_dual_add_f32 v61, v170, v117 :: v_dual_add_f32 v62, v209, v118
	v_dual_add_f32 v63, v210, v119 :: v_dual_add_f32 v112, v129, v120
	v_add_f32_e32 v48, v127, v54
	v_add_f32_e32 v54, v205, v121
	v_dual_add_f32 v50, v50, v95 :: v_dual_add_f32 v51, v51, v96
	ds_store_2addr_b64 v105, v[58:59], v[62:63] offset0:4 offset1:5
	ds_store_2addr_b64 v105, v[112:113], v[60:61] offset0:6 offset1:7
	;; [unrolled: 1-line block ×3, first 2 shown]
	ds_store_b64 v105, v[99:100] offset:80
	ds_store_2addr_b64 v105, v[52:53], v[54:55] offset0:2 offset1:3
	ds_store_2addr_b64 v105, v[50:51], v[48:49] offset1:1
	global_wb scope:SCOPE_SE
	s_wait_dscnt 0x0
	s_barrier_signal -1
	s_barrier_wait -1
	global_inv scope:SCOPE_SE
	ds_load_2addr_b64 v[52:55], v104 offset1:132
	ds_load_2addr_b64 v[48:51], v102 offset0:8 offset1:228
	ds_load_2addr_b64 v[60:63], v114 offset0:72 offset1:204
	;; [unrolled: 1-line block ×3, first 2 shown]
	ds_load_b64 v[95:96], v104 offset:9856
	s_and_saveexec_b32 s1, vcc_lo
	s_cbranch_execz .LBB0_11
; %bb.10:
	ds_load_b64 v[97:98], v104 offset:3168
	ds_load_b64 v[99:100], v104 offset:7040
	;; [unrolled: 1-line block ×3, first 2 shown]
.LBB0_11:
	s_wait_alu 0xfffe
	s_or_b32 exec_lo, exec_lo, s1
	s_wait_dscnt 0x2
	v_dual_mul_f32 v101, v21, v51 :: v_dual_mul_f32 v102, v23, v61
	v_mul_f32_e32 v21, v21, v50
	v_mul_f32_e32 v23, v23, v60
	global_wb scope:SCOPE_SE
	s_wait_dscnt 0x0
	v_dual_fmac_f32 v101, v20, v50 :: v_dual_fmac_f32 v102, v22, v60
	v_fma_f32 v20, v20, v51, -v21
	v_mul_f32_e32 v60, v5, v59
	v_mul_f32_e32 v21, v13, v57
	;; [unrolled: 1-line block ×4, first 2 shown]
	v_fma_f32 v23, v22, v61, -v23
	v_fmac_f32_e32 v60, v4, v58
	v_fmac_f32_e32 v21, v12, v56
	v_fma_f32 v56, v12, v57, -v13
	v_mul_f32_e32 v12, v5, v58
	v_mul_f32_e32 v5, v1, v100
	;; [unrolled: 1-line block ×6, first 2 shown]
	v_fmac_f32_e32 v5, v0, v99
	v_fma_f32 v1, v0, v100, -v1
	v_mul_f32_e32 v0, v3, v94
	v_fma_f32 v4, v4, v59, -v12
	v_fmac_f32_e32 v61, v6, v95
	v_fma_f32 v59, v6, v96, -v7
	s_barrier_signal -1
	v_fmac_f32_e32 v0, v2, v93
	v_dual_add_f32 v6, v101, v102 :: v_dual_add_f32 v7, v52, v101
	s_barrier_wait -1
	global_inv scope:SCOPE_SE
	v_fma_f32 v12, -0.5, v6, v52
	v_sub_f32_e32 v6, v20, v23
	v_fma_f32 v57, v14, v63, -v15
	v_fmac_f32_e32 v51, v14, v62
	v_mul_f32_e32 v3, v3, v93
	v_add_f32_e32 v14, v7, v102
	v_dual_fmamk_f32 v22, v6, 0xbf5db3d7, v12 :: v_dual_add_f32 v7, v53, v20
	v_fmac_f32_e32 v12, 0x3f5db3d7, v6
	v_add_f32_e32 v6, v21, v51
	v_fma_f32 v2, v2, v94, -v3
	v_add_f32_e32 v3, v20, v23
	v_dual_add_f32 v15, v7, v23 :: v_dual_add_f32 v20, v48, v60
	v_add_f32_e32 v7, v54, v21
	v_fma_f32 v54, -0.5, v6, v54
	v_sub_f32_e32 v6, v56, v57
	v_fma_f32 v13, -0.5, v3, v53
	s_delay_alu instid0(VALU_DEP_2) | instskip(SKIP_2) | instid1(VALU_DEP_1)
	v_fmamk_f32 v52, v6, 0xbf5db3d7, v54
	v_fmac_f32_e32 v54, 0x3f5db3d7, v6
	v_add_f32_e32 v6, v60, v61
	v_fma_f32 v48, -0.5, v6, v48
	v_dual_sub_f32 v6, v4, v59 :: v_dual_sub_f32 v3, v101, v102
	v_add_f32_e32 v50, v7, v51
	s_delay_alu instid0(VALU_DEP_2) | instskip(NEXT) | instid1(VALU_DEP_3)
	v_dual_add_f32 v7, v55, v56 :: v_dual_fmamk_f32 v58, v6, 0xbf5db3d7, v48
	v_fmamk_f32 v23, v3, 0x3f5db3d7, v13
	v_fmac_f32_e32 v13, 0xbf5db3d7, v3
	v_add_f32_e32 v3, v56, v57
	v_add_f32_e32 v56, v20, v61
	v_fmac_f32_e32 v48, 0x3f5db3d7, v6
	v_add_f32_e32 v6, v0, v5
	s_delay_alu instid0(VALU_DEP_4) | instskip(SKIP_2) | instid1(VALU_DEP_2)
	v_dual_add_f32 v20, v49, v4 :: v_dual_fmac_f32 v55, -0.5, v3
	v_sub_f32_e32 v3, v21, v51
	v_sub_f32_e32 v21, v60, v61
	v_fmamk_f32 v53, v3, 0x3f5db3d7, v55
	v_fmac_f32_e32 v55, 0xbf5db3d7, v3
	v_dual_add_f32 v3, v4, v59 :: v_dual_add_f32 v4, v2, v1
	s_delay_alu instid0(VALU_DEP_1) | instskip(SKIP_2) | instid1(VALU_DEP_4)
	v_fmac_f32_e32 v49, -0.5, v3
	v_fma_f32 v3, -0.5, v6, v97
	v_dual_sub_f32 v6, v1, v2 :: v_dual_add_f32 v51, v7, v57
	v_fma_f32 v4, -0.5, v4, v98
	v_sub_f32_e32 v7, v5, v0
	s_delay_alu instid0(VALU_DEP_3) | instskip(SKIP_2) | instid1(VALU_DEP_4)
	v_dual_add_f32 v57, v20, v59 :: v_dual_fmamk_f32 v20, v6, 0x3f5db3d7, v3
	v_fmamk_f32 v59, v21, 0x3f5db3d7, v49
	v_fmac_f32_e32 v49, 0xbf5db3d7, v21
	v_fmamk_f32 v21, v7, 0xbf5db3d7, v4
	ds_store_2addr_b64 v111, v[14:15], v[22:23] offset1:11
	ds_store_b64 v111, v[12:13] offset:176
	ds_store_2addr_b64 v110, v[50:51], v[52:53] offset1:11
	ds_store_b64 v110, v[54:55] offset:176
	;; [unrolled: 2-line block ×3, first 2 shown]
	s_and_saveexec_b32 s1, vcc_lo
	s_cbranch_execz .LBB0_13
; %bb.12:
	v_mad_u16 v12, v106, 33, v107
	v_dual_mul_f32 v7, 0x3f5db3d7, v7 :: v_dual_mul_f32 v6, 0x3f5db3d7, v6
	v_add_f32_e32 v1, v1, v98
	s_delay_alu instid0(VALU_DEP_3) | instskip(NEXT) | instid1(VALU_DEP_3)
	v_dual_add_f32 v5, v97, v5 :: v_dual_and_b32 v12, 0xffff, v12
	v_add_f32_e32 v4, v7, v4
	s_delay_alu instid0(VALU_DEP_4) | instskip(NEXT) | instid1(VALU_DEP_4)
	v_sub_f32_e32 v3, v3, v6
	v_add_f32_e32 v1, v2, v1
	s_delay_alu instid0(VALU_DEP_4)
	v_add_f32_e32 v0, v0, v5
	v_lshlrev_b32_e32 v2, 3, v12
	ds_store_2addr_b64 v2, v[0:1], v[3:4] offset1:11
	ds_store_b64 v2, v[20:21] offset:176
.LBB0_13:
	s_wait_alu 0xfffe
	s_or_b32 exec_lo, exec_lo, s1
	global_wb scope:SCOPE_SE
	s_wait_dscnt 0x0
	s_barrier_signal -1
	s_barrier_wait -1
	global_inv scope:SCOPE_SE
	ds_load_2addr_b64 v[0:3], v104 offset1:132
	v_add_nc_u32_e32 v4, 0x800, v104
	s_wait_dscnt 0x0
	v_dual_mul_f32 v22, v33, v2 :: v_dual_add_nc_u32 v5, 0x1000, v104
	v_mul_f32_e32 v7, v33, v3
	ds_load_2addr_b64 v[12:15], v4 offset0:8 offset1:140
	ds_load_2addr_b64 v[49:52], v5 offset0:16 offset1:148
	v_add_nc_u32_e32 v5, 0x1800, v104
	v_dual_fmac_f32 v7, v32, v2 :: v_dual_add_nc_u32 v48, 0x2000, v104
	v_fma_f32 v2, v32, v3, -v22
	s_wait_dscnt 0x1
	v_mul_f32_e32 v22, v35, v13
	ds_load_2addr_b64 v[53:56], v5 offset0:24 offset1:156
	ds_load_b64 v[5:6], v104 offset:10560
	ds_load_2addr_b64 v[57:60], v48 offset0:32 offset1:164
	s_wait_dscnt 0x3
	v_dual_mul_f32 v23, v29, v15 :: v_dual_mul_f32 v32, v31, v50
	v_mul_f32_e32 v3, v35, v12
	v_dual_mul_f32 v29, v29, v14 :: v_dual_fmac_f32 v22, v34, v12
	v_mul_f32_e32 v31, v31, v49
	v_mul_f32_e32 v33, v17, v52
	v_dual_fmac_f32 v23, v28, v14 :: v_dual_fmac_f32 v32, v30, v49
	v_fma_f32 v12, v34, v13, -v3
	v_fma_f32 v13, v28, v15, -v29
	v_mul_f32_e32 v3, v17, v51
	v_dual_add_f32 v28, v1, v2 :: v_dual_fmac_f32 v33, v16, v51
	v_add_f32_e32 v17, v0, v7
	v_fma_f32 v14, v30, v50, -v31
	s_delay_alu instid0(VALU_DEP_4)
	v_fma_f32 v16, v16, v52, -v3
	global_wb scope:SCOPE_SE
	s_wait_dscnt 0x0
	v_mul_f32_e32 v15, v19, v54
	v_mul_f32_e32 v3, v19, v53
	v_add_f32_e32 v19, v28, v12
	v_mul_f32_e32 v28, v9, v56
	v_mul_f32_e32 v9, v9, v55
	v_add_f32_e32 v17, v17, v22
	s_barrier_signal -1
	s_barrier_wait -1
	v_fmac_f32_e32 v28, v8, v55
	v_fma_f32 v8, v8, v56, -v9
	v_mul_f32_e32 v9, v11, v58
	v_mul_f32_e32 v11, v11, v57
	global_inv scope:SCOPE_SE
	v_fmac_f32_e32 v9, v10, v57
	v_fma_f32 v10, v10, v58, -v11
	v_mul_f32_e32 v11, v27, v5
	v_mul_f32_e32 v27, v27, v6
	s_delay_alu instid0(VALU_DEP_2) | instskip(NEXT) | instid1(VALU_DEP_2)
	v_fma_f32 v6, v26, v6, -v11
	v_fmac_f32_e32 v27, v26, v5
	v_fmac_f32_e32 v15, v18, v53
	v_fma_f32 v18, v18, v54, -v3
	v_add_f32_e32 v3, v17, v23
	v_add_f32_e32 v17, v19, v13
	v_mul_f32_e32 v19, v25, v60
	v_mul_f32_e32 v25, v25, v59
	s_delay_alu instid0(VALU_DEP_4) | instskip(NEXT) | instid1(VALU_DEP_2)
	v_add_f32_e32 v3, v3, v32
	v_fma_f32 v5, v24, v60, -v25
	v_add_f32_e32 v25, v2, v6
	s_delay_alu instid0(VALU_DEP_2)
	v_sub_f32_e32 v57, v12, v5
	v_fmac_f32_e32 v19, v24, v59
	v_dual_add_f32 v24, v7, v27 :: v_dual_add_f32 v17, v17, v14
	v_add_f32_e32 v3, v3, v33
	v_mul_f32_e32 v53, 0xbf27a4f4, v25
	v_mul_f32_e32 v31, 0x3ed4b147, v25
	;; [unrolled: 1-line block ×3, first 2 shown]
	v_add_f32_e32 v17, v17, v16
	v_add_f32_e32 v3, v3, v15
	s_delay_alu instid0(VALU_DEP_2) | instskip(NEXT) | instid1(VALU_DEP_2)
	v_add_f32_e32 v17, v17, v18
	v_add_f32_e32 v3, v3, v28
	s_delay_alu instid0(VALU_DEP_2) | instskip(SKIP_1) | instid1(VALU_DEP_1)
	v_add_f32_e32 v11, v17, v8
	v_sub_f32_e32 v17, v2, v6
	v_dual_add_f32 v11, v11, v10 :: v_dual_mul_f32 v52, 0xbf4178ce, v17
	v_mul_f32_e32 v34, 0xbf7d64f0, v17
	v_mul_f32_e32 v26, 0xbf0a6770, v17
	s_delay_alu instid0(VALU_DEP_3) | instskip(NEXT) | instid1(VALU_DEP_3)
	v_fmamk_f32 v54, v24, 0xbf27a4f4, v52
	v_fmamk_f32 v50, v24, 0xbe11bafb, v34
	s_delay_alu instid0(VALU_DEP_3)
	v_fmamk_f32 v29, v24, 0x3f575c64, v26
	v_fma_f32 v26, 0x3f575c64, v24, -v26
	v_fma_f32 v34, 0xbe11bafb, v24, -v34
	v_dual_add_f32 v54, v0, v54 :: v_dual_add_f32 v3, v3, v9
	v_add_f32_e32 v50, v0, v50
	v_fma_f32 v52, 0xbf27a4f4, v24, -v52
	v_add_f32_e32 v26, v0, v26
	v_add_f32_e32 v34, v0, v34
	;; [unrolled: 1-line block ×6, first 2 shown]
	s_delay_alu instid0(VALU_DEP_3) | instskip(SKIP_3) | instid1(VALU_DEP_3)
	v_dual_add_f32 v2, v2, v27 :: v_dual_add_f32 v3, v3, v6
	v_mul_f32_e32 v6, 0xbf68dda4, v17
	v_mul_f32_e32 v17, 0xbe903f40, v17
	;; [unrolled: 1-line block ×3, first 2 shown]
	v_fmamk_f32 v30, v24, 0x3ed4b147, v6
	v_fma_f32 v6, 0x3ed4b147, v24, -v6
	s_delay_alu instid0(VALU_DEP_4)
	v_fmamk_f32 v56, v24, 0xbf75a155, v17
	v_fma_f32 v17, 0xbf75a155, v24, -v17
	v_mul_f32_e32 v24, 0xbf68dda4, v57
	v_add_f32_e32 v12, v22, v19
	v_dual_sub_f32 v7, v7, v27 :: v_dual_add_f32 v30, v0, v30
	v_mul_f32_e32 v11, 0x3f575c64, v25
	v_dual_mul_f32 v25, 0xbf75a155, v25 :: v_dual_add_f32 v6, v0, v6
	s_delay_alu instid0(VALU_DEP_3) | instskip(SKIP_1) | instid1(VALU_DEP_4)
	v_fmamk_f32 v55, v7, 0x3f4178ce, v53
	v_fmac_f32_e32 v53, 0xbf4178ce, v7
	v_fmamk_f32 v27, v7, 0x3f0a6770, v11
	v_fmamk_f32 v35, v7, 0x3f68dda4, v31
	v_fmac_f32_e32 v31, 0xbf68dda4, v7
	v_fmamk_f32 v51, v7, 0x3f7d64f0, v49
	v_fmac_f32_e32 v49, 0xbf7d64f0, v7
	v_add_f32_e32 v53, v1, v53
	v_fmac_f32_e32 v11, 0xbf0a6770, v7
	v_fmamk_f32 v58, v7, 0x3e903f40, v25
	v_fmac_f32_e32 v25, 0xbe903f40, v7
	v_sub_f32_e32 v7, v22, v19
	v_mul_f32_e32 v19, 0x3ed4b147, v5
	v_add_f32_e32 v29, v0, v29
	v_add_f32_e32 v27, v1, v27
	;; [unrolled: 1-line block ×6, first 2 shown]
	v_dual_add_f32 v55, v1, v55 :: v_dual_add_f32 v56, v0, v56
	v_add_f32_e32 v22, v1, v58
	v_dual_add_f32 v11, v1, v11 :: v_dual_fmamk_f32 v58, v12, 0x3ed4b147, v24
	v_add_f32_e32 v0, v0, v17
	v_add_f32_e32 v1, v1, v25
	v_fmamk_f32 v17, v7, 0x3f68dda4, v19
	v_mul_f32_e32 v25, 0xbf4178ce, v57
	v_add_f32_e32 v29, v58, v29
	v_fma_f32 v24, 0x3ed4b147, v12, -v24
	v_fmac_f32_e32 v19, 0xbf68dda4, v7
	v_add_f32_e32 v17, v17, v27
	v_dual_fmamk_f32 v27, v12, 0xbf27a4f4, v25 :: v_dual_mul_f32 v58, 0xbf27a4f4, v5
	s_delay_alu instid0(VALU_DEP_3) | instskip(NEXT) | instid1(VALU_DEP_2)
	v_dual_add_f32 v24, v24, v26 :: v_dual_add_f32 v11, v19, v11
	v_dual_mul_f32 v19, 0x3e903f40, v57 :: v_dual_add_f32 v26, v27, v30
	s_delay_alu instid0(VALU_DEP_3) | instskip(SKIP_2) | instid1(VALU_DEP_4)
	v_fmamk_f32 v27, v7, 0x3f4178ce, v58
	v_fma_f32 v25, 0xbf27a4f4, v12, -v25
	v_fmac_f32_e32 v58, 0xbf4178ce, v7
	v_fmamk_f32 v30, v12, 0xbf75a155, v19
	v_fma_f32 v19, 0xbf75a155, v12, -v19
	s_delay_alu instid0(VALU_DEP_4) | instskip(NEXT) | instid1(VALU_DEP_4)
	v_dual_add_f32 v27, v27, v35 :: v_dual_add_f32 v6, v25, v6
	v_add_f32_e32 v25, v58, v31
	v_fmamk_f32 v31, v7, 0xbe903f40, v59
	v_dual_mul_f32 v35, 0x3f7d64f0, v57 :: v_dual_add_f32 v30, v30, v50
	v_mul_f32_e32 v50, 0xbe11bafb, v5
	v_mul_f32_e32 v57, 0x3f0a6770, v57
	s_delay_alu instid0(VALU_DEP_4) | instskip(NEXT) | instid1(VALU_DEP_4)
	v_add_f32_e32 v31, v31, v51
	v_fmamk_f32 v51, v12, 0xbe11bafb, v35
	v_add_f32_e32 v19, v19, v34
	v_fmamk_f32 v34, v7, 0xbf7d64f0, v50
	v_fma_f32 v35, 0xbe11bafb, v12, -v35
	s_delay_alu instid0(VALU_DEP_4) | instskip(SKIP_1) | instid1(VALU_DEP_3)
	v_dual_fmac_f32 v50, 0x3f7d64f0, v7 :: v_dual_add_f32 v51, v51, v54
	v_dual_fmamk_f32 v54, v12, 0x3f575c64, v57 :: v_dual_mul_f32 v5, 0x3f575c64, v5
	v_dual_add_f32 v35, v35, v52 :: v_dual_sub_f32 v52, v13, v10
	s_delay_alu instid0(VALU_DEP_3) | instskip(NEXT) | instid1(VALU_DEP_3)
	v_add_f32_e32 v50, v50, v53
	v_dual_add_f32 v53, v54, v56 :: v_dual_fmamk_f32 v54, v7, 0xbf0a6770, v5
	v_add_f32_e32 v10, v13, v10
	s_delay_alu instid0(VALU_DEP_4)
	v_mul_f32_e32 v56, 0xbf7d64f0, v52
	v_fmac_f32_e32 v59, 0x3e903f40, v7
	v_fma_f32 v12, 0x3f575c64, v12, -v57
	v_add_f32_e32 v22, v54, v22
	v_mul_f32_e32 v54, 0x3f575c64, v10
	v_dual_add_f32 v34, v34, v55 :: v_dual_add_f32 v55, v23, v9
	v_fmac_f32_e32 v5, 0x3f0a6770, v7
	v_sub_f32_e32 v7, v23, v9
	v_dual_mul_f32 v13, 0xbe11bafb, v10 :: v_dual_add_f32 v0, v12, v0
	s_delay_alu instid0(VALU_DEP_4) | instskip(NEXT) | instid1(VALU_DEP_4)
	v_fmamk_f32 v9, v55, 0xbe11bafb, v56
	v_dual_add_f32 v1, v5, v1 :: v_dual_mul_f32 v12, 0x3e903f40, v52
	v_fma_f32 v23, 0xbe11bafb, v55, -v56
	s_delay_alu instid0(VALU_DEP_3) | instskip(SKIP_4) | instid1(VALU_DEP_4)
	v_add_f32_e32 v5, v9, v29
	v_fmamk_f32 v9, v7, 0x3f7d64f0, v13
	v_fmac_f32_e32 v13, 0xbf7d64f0, v7
	v_mul_f32_e32 v29, 0xbf75a155, v10
	v_add_f32_e32 v23, v23, v24
	v_dual_mul_f32 v24, 0x3f68dda4, v52 :: v_dual_add_f32 v9, v9, v17
	v_fmamk_f32 v17, v55, 0xbf75a155, v12
	v_add_f32_e32 v11, v13, v11
	v_fmamk_f32 v13, v7, 0xbe903f40, v29
	v_fma_f32 v12, 0xbf75a155, v55, -v12
	v_fmac_f32_e32 v29, 0x3e903f40, v7
	v_dual_add_f32 v17, v17, v26 :: v_dual_fmamk_f32 v26, v55, 0x3ed4b147, v24
	s_delay_alu instid0(VALU_DEP_4) | instskip(SKIP_3) | instid1(VALU_DEP_3)
	v_add_f32_e32 v13, v13, v27
	v_mul_f32_e32 v27, 0x3ed4b147, v10
	v_add_f32_e32 v6, v12, v6
	v_dual_add_f32 v12, v29, v25 :: v_dual_mul_f32 v25, 0xbf0a6770, v52
	v_dual_add_f32 v26, v26, v30 :: v_dual_fmamk_f32 v29, v7, 0xbf68dda4, v27
	v_fma_f32 v24, 0x3ed4b147, v55, -v24
	v_fmac_f32_e32 v27, 0x3f68dda4, v7
	s_delay_alu instid0(VALU_DEP_4) | instskip(SKIP_1) | instid1(VALU_DEP_4)
	v_fmamk_f32 v30, v55, 0x3f575c64, v25
	v_dual_add_f32 v49, v59, v49 :: v_dual_mul_f32 v10, 0xbf27a4f4, v10
	v_add_f32_e32 v19, v24, v19
	v_fma_f32 v25, 0x3f575c64, v55, -v25
	s_delay_alu instid0(VALU_DEP_3)
	v_dual_add_f32 v29, v29, v31 :: v_dual_add_f32 v24, v27, v49
	v_dual_add_f32 v27, v30, v51 :: v_dual_fmamk_f32 v30, v7, 0x3f0a6770, v54
	v_fmac_f32_e32 v54, 0xbf0a6770, v7
	v_fmamk_f32 v49, v7, 0x3f4178ce, v10
	v_add_f32_e32 v25, v25, v35
	v_dual_mul_f32 v31, 0xbf4178ce, v52 :: v_dual_fmac_f32 v10, 0xbf4178ce, v7
	s_delay_alu instid0(VALU_DEP_4) | instskip(SKIP_4) | instid1(VALU_DEP_4)
	v_add_f32_e32 v35, v54, v50
	v_sub_f32_e32 v50, v14, v8
	v_dual_add_f32 v22, v49, v22 :: v_dual_add_f32 v49, v32, v28
	v_add_f32_e32 v8, v14, v8
	v_add_f32_e32 v30, v30, v34
	v_mul_f32_e32 v14, 0xbf4178ce, v50
	v_fmamk_f32 v34, v55, 0xbf27a4f4, v31
	v_fma_f32 v31, 0xbf27a4f4, v55, -v31
	v_sub_f32_e32 v7, v32, v28
	v_mul_f32_e32 v28, 0xbf27a4f4, v8
	v_dual_fmamk_f32 v32, v49, 0xbf27a4f4, v14 :: v_dual_add_f32 v1, v10, v1
	v_mul_f32_e32 v10, 0x3f7d64f0, v50
	v_add_f32_e32 v0, v31, v0
	s_delay_alu instid0(VALU_DEP_4) | instskip(NEXT) | instid1(VALU_DEP_4)
	v_fmamk_f32 v31, v7, 0x3f4178ce, v28
	v_add_f32_e32 v5, v32, v5
	v_fma_f32 v14, 0xbf27a4f4, v49, -v14
	v_fmamk_f32 v32, v49, 0xbe11bafb, v10
	s_delay_alu instid0(VALU_DEP_4) | instskip(NEXT) | instid1(VALU_DEP_3)
	v_dual_fmac_f32 v28, 0xbf4178ce, v7 :: v_dual_add_f32 v9, v31, v9
	v_dual_mul_f32 v31, 0xbe11bafb, v8 :: v_dual_add_f32 v14, v14, v23
	s_delay_alu instid0(VALU_DEP_3) | instskip(SKIP_1) | instid1(VALU_DEP_4)
	v_add_f32_e32 v23, v32, v17
	v_fma_f32 v10, 0xbe11bafb, v49, -v10
	v_dual_mul_f32 v32, 0x3f575c64, v8 :: v_dual_add_f32 v11, v28, v11
	v_mul_f32_e32 v17, 0xbf0a6770, v50
	v_fmamk_f32 v28, v7, 0xbf7d64f0, v31
	s_delay_alu instid0(VALU_DEP_4) | instskip(NEXT) | instid1(VALU_DEP_4)
	v_add_f32_e32 v10, v10, v6
	v_fmamk_f32 v6, v7, 0x3f0a6770, v32
	v_fmac_f32_e32 v31, 0x3f7d64f0, v7
	v_fmamk_f32 v51, v49, 0x3f575c64, v17
	v_dual_add_f32 v13, v28, v13 :: v_dual_mul_f32 v28, 0xbe903f40, v50
	v_fma_f32 v17, 0x3f575c64, v49, -v17
	v_dual_add_f32 v29, v6, v29 :: v_dual_mul_f32 v6, 0xbf75a155, v8
	v_add_f32_e32 v12, v31, v12
	s_delay_alu instid0(VALU_DEP_4) | instskip(NEXT) | instid1(VALU_DEP_4)
	v_dual_add_f32 v26, v51, v26 :: v_dual_fmamk_f32 v31, v49, 0xbf75a155, v28
	v_add_f32_e32 v51, v17, v19
	v_mul_f32_e32 v17, 0x3f68dda4, v50
	v_fmamk_f32 v19, v7, 0x3e903f40, v6
	v_fma_f32 v28, 0xbf75a155, v49, -v28
	v_fmac_f32_e32 v6, 0xbe903f40, v7
	v_mul_f32_e32 v8, 0x3ed4b147, v8
	v_fmac_f32_e32 v32, 0xbf0a6770, v7
	v_add_f32_e32 v27, v31, v27
	v_fmamk_f32 v31, v49, 0x3ed4b147, v17
	v_dual_add_f32 v25, v28, v25 :: v_dual_add_f32 v28, v6, v35
	v_fmamk_f32 v6, v7, 0xbf68dda4, v8
	v_add_f32_e32 v34, v34, v53
	v_add_f32_e32 v24, v32, v24
	v_dual_sub_f32 v32, v16, v18 :: v_dual_add_f32 v35, v33, v15
	s_delay_alu instid0(VALU_DEP_3) | instskip(SKIP_1) | instid1(VALU_DEP_3)
	v_dual_fmac_f32 v8, 0x3f68dda4, v7 :: v_dual_add_f32 v31, v31, v34
	v_add_f32_e32 v34, v16, v18
	v_dual_mul_f32 v16, 0xbe903f40, v32 :: v_dual_sub_f32 v15, v33, v15
	v_fma_f32 v17, 0x3ed4b147, v49, -v17
	v_add_f32_e32 v33, v6, v22
	s_delay_alu instid0(VALU_DEP_3) | instskip(SKIP_3) | instid1(VALU_DEP_4)
	v_dual_mul_f32 v7, 0xbf75a155, v34 :: v_dual_fmamk_f32 v6, v35, 0xbf75a155, v16
	v_add_f32_e32 v50, v8, v1
	v_mul_f32_e32 v8, 0x3f0a6770, v32
	v_add_f32_e32 v49, v17, v0
	v_fmamk_f32 v1, v15, 0x3e903f40, v7
	v_dual_fmac_f32 v7, 0xbe903f40, v15 :: v_dual_add_f32 v0, v6, v5
	v_fma_f32 v5, 0xbf75a155, v35, -v16
	s_delay_alu instid0(VALU_DEP_3) | instskip(SKIP_1) | instid1(VALU_DEP_4)
	v_dual_fmamk_f32 v6, v35, 0x3f575c64, v8 :: v_dual_add_f32 v1, v1, v9
	v_mul_f32_e32 v9, 0x3f575c64, v34
	v_add_f32_e32 v17, v7, v11
	s_delay_alu instid0(VALU_DEP_4) | instskip(NEXT) | instid1(VALU_DEP_3)
	v_dual_mul_f32 v11, 0xbf4178ce, v32 :: v_dual_add_f32 v16, v5, v14
	v_dual_add_f32 v5, v6, v23 :: v_dual_fmamk_f32 v6, v15, 0xbf0a6770, v9
	v_fma_f32 v7, 0x3f575c64, v35, -v8
	v_fmac_f32_e32 v9, 0x3f0a6770, v15
	s_delay_alu instid0(VALU_DEP_4) | instskip(SKIP_2) | instid1(VALU_DEP_4)
	v_fmamk_f32 v8, v35, 0xbf27a4f4, v11
	v_mul_f32_e32 v14, 0xbf27a4f4, v34
	v_add_f32_e32 v30, v19, v30
	v_dual_add_f32 v18, v7, v10 :: v_dual_add_f32 v19, v9, v12
	s_delay_alu instid0(VALU_DEP_3) | instskip(SKIP_4) | instid1(VALU_DEP_4)
	v_dual_add_f32 v7, v8, v26 :: v_dual_fmamk_f32 v8, v15, 0x3f4178ce, v14
	v_mul_f32_e32 v9, 0x3f68dda4, v32
	v_fmac_f32_e32 v14, 0xbf4178ce, v15
	v_add_f32_e32 v6, v6, v13
	v_fma_f32 v10, 0xbf27a4f4, v35, -v11
	v_dual_mul_f32 v12, 0x3ed4b147, v34 :: v_dual_fmamk_f32 v11, v35, 0x3ed4b147, v9
	s_delay_alu instid0(VALU_DEP_4)
	v_add_f32_e32 v23, v14, v24
	v_fma_f32 v13, 0x3ed4b147, v35, -v9
	v_mul_f32_e32 v14, 0xbf7d64f0, v32
	v_mul_f32_e32 v26, 0xbe11bafb, v34
	v_add_f32_e32 v22, v10, v51
	v_fmamk_f32 v10, v15, 0xbf68dda4, v12
	v_add_f32_e32 v9, v11, v27
	v_add_f32_e32 v11, v13, v25
	v_fmamk_f32 v13, v35, 0xbe11bafb, v14
	v_fmamk_f32 v24, v15, 0x3f7d64f0, v26
	v_fmac_f32_e32 v26, 0xbf7d64f0, v15
	v_fmac_f32_e32 v12, 0x3f68dda4, v15
	v_fma_f32 v25, 0xbe11bafb, v35, -v14
	v_add_f32_e32 v8, v8, v29
	v_dual_add_f32 v10, v10, v30 :: v_dual_add_f32 v13, v13, v31
	v_add_f32_e32 v14, v24, v33
	v_add_f32_e32 v12, v12, v28
	v_dual_add_f32 v24, v25, v49 :: v_dual_add_f32 v25, v26, v50
	v_add_nc_u32_e32 v15, 0x800, v108
	ds_store_2addr_b64 v108, v[2:3], v[0:1] offset1:33
	ds_store_2addr_b64 v108, v[5:6], v[7:8] offset0:66 offset1:99
	ds_store_2addr_b64 v108, v[9:10], v[13:14] offset0:132 offset1:165
	;; [unrolled: 1-line block ×4, first 2 shown]
	ds_store_b64 v108, v[16:17] offset:2640
	v_add_nc_u32_e32 v5, 0x1400, v104
	global_wb scope:SCOPE_SE
	s_wait_dscnt 0x0
	s_barrier_signal -1
	s_barrier_wait -1
	global_inv scope:SCOPE_SE
	ds_load_2addr_b64 v[0:3], v104 offset1:132
	ds_load_2addr_b64 v[12:15], v4 offset0:107 offset1:239
	ds_load_2addr_b64 v[4:7], v5 offset0:86 offset1:218
	;; [unrolled: 1-line block ×3, first 2 shown]
	s_and_saveexec_b32 s1, s0
	s_cbranch_execz .LBB0_15
; %bb.14:
	ds_load_b64 v[22:23], v104 offset:2112
	ds_load_b64 v[18:19], v104 offset:5016
	;; [unrolled: 1-line block ×4, first 2 shown]
.LBB0_15:
	s_wait_alu 0xfffe
	s_or_b32 exec_lo, exec_lo, s1
	s_wait_dscnt 0x1
	v_dual_mul_f32 v24, v45, v13 :: v_dual_mul_f32 v27, v47, v4
	v_dual_mul_f32 v25, v45, v12 :: v_dual_mul_f32 v26, v47, v5
	s_delay_alu instid0(VALU_DEP_2) | instskip(NEXT) | instid1(VALU_DEP_3)
	v_fmac_f32_e32 v24, v44, v12
	v_fma_f32 v5, v46, v5, -v27
	s_delay_alu instid0(VALU_DEP_3) | instskip(NEXT) | instid1(VALU_DEP_4)
	v_fma_f32 v12, v44, v13, -v25
	v_dual_mul_f32 v25, v41, v15 :: v_dual_fmac_f32 v26, v46, v4
	s_wait_dscnt 0x0
	v_dual_mul_f32 v27, v41, v14 :: v_dual_mul_f32 v4, v92, v9
	v_mul_f32_e32 v13, v92, v8
	s_delay_alu instid0(VALU_DEP_3)
	v_fmac_f32_e32 v25, v40, v14
	v_sub_f32_e32 v14, v0, v26
	v_sub_f32_e32 v26, v1, v5
	v_fmac_f32_e32 v4, v91, v8
	v_mul_f32_e32 v8, v43, v7
	v_fma_f32 v9, v91, v9, -v13
	v_fma_f32 v13, v40, v15, -v27
	v_fma_f32 v27, v1, 2.0, -v26
	s_delay_alu instid0(VALU_DEP_4) | instskip(SKIP_2) | instid1(VALU_DEP_1)
	v_dual_sub_f32 v15, v24, v4 :: v_dual_fmac_f32 v8, v42, v6
	v_mul_f32_e32 v4, v43, v6
	v_dual_sub_f32 v6, v12, v9 :: v_dual_mul_f32 v9, v90, v11
	v_fmac_f32_e32 v9, v89, v10
	s_delay_alu instid0(VALU_DEP_2) | instskip(NEXT) | instid1(VALU_DEP_1)
	v_fma_f32 v1, v12, 2.0, -v6
	v_sub_f32_e32 v1, v27, v1
	v_fma_f32 v5, v0, 2.0, -v14
	v_fma_f32 v0, v24, 2.0, -v15
	v_mul_f32_e32 v24, v90, v10
	v_add_f32_e32 v6, v14, v6
	s_delay_alu instid0(VALU_DEP_2) | instskip(SKIP_3) | instid1(VALU_DEP_4)
	v_fma_f32 v10, v89, v11, -v24
	v_sub_f32_e32 v11, v25, v9
	v_fma_f32 v7, v42, v7, -v4
	v_sub_f32_e32 v24, v2, v8
	v_sub_f32_e32 v10, v13, v10
	s_delay_alu instid0(VALU_DEP_3) | instskip(NEXT) | instid1(VALU_DEP_3)
	v_sub_f32_e32 v28, v3, v7
	v_fma_f32 v12, v2, 2.0, -v24
	v_fma_f32 v2, v14, 2.0, -v6
	s_delay_alu instid0(VALU_DEP_4)
	v_fma_f32 v9, v13, 2.0, -v10
	v_add_f32_e32 v10, v24, v10
	v_fma_f32 v29, v3, 2.0, -v28
	v_fma_f32 v3, v25, 2.0, -v11
	v_dual_sub_f32 v11, v28, v11 :: v_dual_sub_f32 v0, v5, v0
	v_sub_f32_e32 v7, v26, v15
	s_delay_alu instid0(VALU_DEP_3) | instskip(SKIP_1) | instid1(VALU_DEP_4)
	v_dual_sub_f32 v9, v29, v9 :: v_dual_sub_f32 v8, v12, v3
	v_fma_f32 v14, v24, 2.0, -v10
	v_fma_f32 v4, v5, 2.0, -v0
	s_delay_alu instid0(VALU_DEP_4)
	v_fma_f32 v3, v26, 2.0, -v7
	v_fma_f32 v5, v27, 2.0, -v1
	;; [unrolled: 1-line block ×5, first 2 shown]
	ds_store_b64 v104, v[2:3] offset:2904
	ds_store_b64 v104, v[0:1] offset:5808
	;; [unrolled: 1-line block ×3, first 2 shown]
	ds_store_2addr_b64 v104, v[4:5], v[12:13] offset1:132
	ds_store_b64 v104, v[14:15] offset:3960
	ds_store_b64 v104, v[8:9] offset:6864
	;; [unrolled: 1-line block ×3, first 2 shown]
	s_and_saveexec_b32 s1, s0
	s_cbranch_execz .LBB0_17
; %bb.16:
	v_dual_mul_f32 v0, v39, v16 :: v_dual_mul_f32 v1, v37, v19
	v_dual_mul_f32 v2, v39, v17 :: v_dual_mul_f32 v3, v37, v18
	v_mul_f32_e32 v5, v88, v21
	s_delay_alu instid0(VALU_DEP_3) | instskip(NEXT) | instid1(VALU_DEP_3)
	v_fma_f32 v0, v38, v17, -v0
	v_dual_fmac_f32 v1, v36, v18 :: v_dual_fmac_f32 v2, v38, v16
	s_delay_alu instid0(VALU_DEP_4) | instskip(NEXT) | instid1(VALU_DEP_4)
	v_fma_f32 v3, v36, v19, -v3
	v_fmac_f32_e32 v5, v87, v20
	s_delay_alu instid0(VALU_DEP_4) | instskip(SKIP_1) | instid1(VALU_DEP_2)
	v_sub_f32_e32 v6, v23, v0
	v_mul_f32_e32 v4, v88, v20
	v_fma_f32 v7, v23, 2.0, -v6
	s_delay_alu instid0(VALU_DEP_2) | instskip(NEXT) | instid1(VALU_DEP_1)
	v_fma_f32 v4, v87, v21, -v4
	v_sub_f32_e32 v0, v3, v4
	v_sub_f32_e32 v4, v22, v2
	s_delay_alu instid0(VALU_DEP_2) | instskip(SKIP_1) | instid1(VALU_DEP_3)
	v_fma_f32 v3, v3, 2.0, -v0
	v_sub_f32_e32 v2, v1, v5
	v_fma_f32 v8, v22, 2.0, -v4
	s_delay_alu instid0(VALU_DEP_3) | instskip(NEXT) | instid1(VALU_DEP_3)
	v_dual_add_f32 v0, v4, v0 :: v_dual_sub_f32 v3, v7, v3
	v_fma_f32 v5, v1, 2.0, -v2
	v_sub_f32_e32 v1, v6, v2
	s_delay_alu instid0(VALU_DEP_3) | instskip(NEXT) | instid1(VALU_DEP_4)
	v_fma_f32 v4, v4, 2.0, -v0
	v_fma_f32 v7, v7, 2.0, -v3
	s_delay_alu instid0(VALU_DEP_4) | instskip(NEXT) | instid1(VALU_DEP_4)
	v_sub_f32_e32 v2, v8, v5
	v_fma_f32 v5, v6, 2.0, -v1
	s_delay_alu instid0(VALU_DEP_2)
	v_fma_f32 v6, v8, 2.0, -v2
	ds_store_b64 v104, v[6:7] offset:2112
	ds_store_b64 v104, v[4:5] offset:5016
	;; [unrolled: 1-line block ×4, first 2 shown]
.LBB0_17:
	s_wait_alu 0xfffe
	s_or_b32 exec_lo, exec_lo, s1
	global_wb scope:SCOPE_SE
	s_wait_dscnt 0x0
	s_barrier_signal -1
	s_barrier_wait -1
	global_inv scope:SCOPE_SE
	ds_load_2addr_b64 v[0:3], v104 offset1:132
	v_add_nc_u32_e32 v4, 0x800, v104
	v_mad_co_u64_u32 v[22:23], null, s4, v103, 0
	s_mov_b32 s0, 0x3a88d0c0
	s_mov_b32 s1, 0x3f469147
	v_mad_co_u64_u32 v[20:21], null, s6, v64, 0
	s_delay_alu instid0(VALU_DEP_1)
	v_mad_co_u64_u32 v[50:51], null, s7, v64, v[21:22]
	s_wait_dscnt 0x0
	v_mul_f32_e32 v29, v70, v2
	ds_load_2addr_b64 v[4:7], v4 offset0:8 offset1:140
	v_add_nc_u32_e32 v8, 0x1000, v104
	v_mul_f32_e32 v26, v66, v1
	v_add_nc_u32_e32 v12, 0x1800, v104
	v_mul_f32_e32 v27, v66, v0
	s_delay_alu instid0(VALU_DEP_3) | instskip(SKIP_1) | instid1(VALU_DEP_3)
	v_dual_mov_b32 v21, v50 :: v_dual_fmac_f32 v26, v65, v0
	v_mov_b32_e32 v0, v23
	v_fma_f32 v27, v65, v1, -v27
	s_wait_dscnt 0x0
	v_mul_f32_e32 v23, v68, v5
	v_mul_f32_e32 v33, v72, v7
	ds_load_2addr_b64 v[8:11], v8 offset0:16 offset1:148
	ds_load_b64 v[24:25], v104 offset:10560
	ds_load_2addr_b64 v[12:15], v12 offset0:24 offset1:156
	v_mul_f32_e32 v28, v70, v3
	v_add_nc_u32_e32 v16, 0x2000, v104
	v_fmac_f32_e32 v23, v67, v4
	v_dual_mul_f32 v32, v68, v4 :: v_dual_fmac_f32 v33, v71, v6
	s_delay_alu instid0(VALU_DEP_4) | instskip(SKIP_1) | instid1(VALU_DEP_3)
	v_fmac_f32_e32 v28, v69, v2
	v_fma_f32 v3, v69, v3, -v29
	v_fma_f32 v5, v67, v5, -v32
	s_delay_alu instid0(VALU_DEP_2)
	v_cvt_f64_f32_e32 v[30:31], v3
	v_cvt_f64_f32_e32 v[3:4], v23
	s_wait_dscnt 0x2
	v_mul_f32_e32 v35, v74, v9
	ds_load_2addr_b64 v[16:19], v16 offset0:32 offset1:164
	s_wait_dscnt 0x1
	v_mul_f32_e32 v41, v82, v15
	v_mul_f32_e32 v39, v78, v13
	v_cvt_f64_f32_e32 v[1:2], v26
	v_cvt_f64_f32_e32 v[26:27], v27
	v_dual_mul_f32 v34, v72, v6 :: v_dual_fmac_f32 v35, v73, v8
	v_mul_f32_e32 v42, v82, v14
	v_cvt_f64_f32_e32 v[28:29], v28
	v_cvt_f64_f32_e32 v[5:6], v5
	v_dual_mul_f32 v37, v76, v11 :: v_dual_mul_f32 v36, v74, v8
	v_dual_mul_f32 v38, v76, v10 :: v_dual_fmac_f32 v39, v77, v12
	v_fma_f32 v32, v71, v7, -v34
	v_fma_f32 v15, v81, v15, -v42
	v_dual_mul_f32 v40, v78, v12 :: v_dual_fmac_f32 v41, v81, v14
	v_fmac_f32_e32 v37, v75, v10
	v_fma_f32 v34, v73, v9, -v36
	s_wait_dscnt 0x0
	v_dual_mul_f32 v44, v80, v17 :: v_dual_mul_f32 v47, v86, v24
	v_fma_f32 v36, v75, v11, -v38
	v_cvt_f64_f32_e32 v[7:8], v33
	v_cvt_f64_f32_e32 v[9:10], v32
	;; [unrolled: 1-line block ×3, first 2 shown]
	v_mul_f32_e32 v15, v80, v16
	v_dual_fmac_f32 v44, v79, v16 :: v_dual_mul_f32 v23, v84, v19
	v_mul_f32_e32 v16, v84, v18
	v_mul_f32_e32 v46, v86, v25
	v_fma_f32 v38, v77, v13, -v40
	v_cvt_f64_f32_e32 v[11:12], v35
	v_fmac_f32_e32 v23, v83, v18
	v_cvt_f64_f32_e32 v[13:14], v34
	v_cvt_f64_f32_e32 v[32:33], v37
	;; [unrolled: 1-line block ×3, first 2 shown]
	v_fma_f32 v15, v79, v17, -v15
	v_fma_f32 v19, v83, v19, -v16
	;; [unrolled: 1-line block ×3, first 2 shown]
	v_cvt_f64_f32_e32 v[36:37], v39
	s_wait_alu 0xfffe
	v_mul_f64_e32 v[1:2], s[0:1], v[1:2]
	v_mul_f64_e32 v[26:27], s[0:1], v[26:27]
	v_cvt_f64_f32_e32 v[38:39], v38
	v_cvt_f64_f32_e32 v[40:41], v41
	;; [unrolled: 1-line block ×6, first 2 shown]
	v_mul_f64_e32 v[28:29], s[0:1], v[28:29]
	v_mul_f64_e32 v[30:31], s[0:1], v[30:31]
	;; [unrolled: 1-line block ×8, first 2 shown]
	v_mad_co_u64_u32 v[51:52], null, s5, v103, v[0:1]
	v_fmac_f32_e32 v46, v85, v24
	v_cvt_f64_f32_e32 v[24:25], v19
	v_lshlrev_b64_e32 v[19:20], 3, v[20:21]
	v_cvt_f32_f64_e32 v0, v[1:2]
	v_cvt_f32_f64_e32 v1, v[26:27]
	v_mul_f64_e32 v[26:27], s[0:1], v[34:35]
	v_mov_b32_e32 v23, v51
	v_cvt_f64_f32_e32 v[46:47], v46
	v_add_co_u32 v2, vcc_lo, s2, v19
	s_wait_alu 0xfffd
	v_add_co_ci_u32_e32 v50, vcc_lo, s3, v20, vcc_lo
	v_lshlrev_b64_e32 v[19:20], 3, v[22:23]
	v_mul_f64_e32 v[21:22], s[0:1], v[32:33]
	v_mul_f64_e32 v[32:33], s[0:1], v[36:37]
	;; [unrolled: 1-line block ×9, first 2 shown]
	v_add_co_u32 v19, vcc_lo, v2, v19
	v_cvt_f32_f64_e32 v28, v[28:29]
	v_cvt_f32_f64_e32 v29, v[30:31]
	;; [unrolled: 1-line block ×4, first 2 shown]
	s_wait_alu 0xfffd
	v_add_co_ci_u32_e32 v20, vcc_lo, v50, v20, vcc_lo
	v_cvt_f32_f64_e32 v6, v[7:8]
	v_cvt_f32_f64_e32 v7, v[9:10]
	v_cvt_f32_f64_e32 v8, v[11:12]
	v_cvt_f32_f64_e32 v9, v[13:14]
	v_mul_f64_e32 v[23:24], s[0:1], v[24:25]
	global_store_b64 v[19:20], v[0:1], off
	v_cvt_f32_f64_e32 v13, v[26:27]
	v_mul_f64_e32 v[42:43], s[0:1], v[46:47]
	s_mul_u64 s[0:1], s[4:5], 0x420
	s_wait_alu 0xfffe
	v_add_co_u32 v30, vcc_lo, v19, s0
	s_wait_alu 0xfffd
	v_add_co_ci_u32_e32 v31, vcc_lo, s1, v20, vcc_lo
	v_cvt_f32_f64_e32 v12, v[21:22]
	s_delay_alu instid0(VALU_DEP_3) | instskip(SKIP_1) | instid1(VALU_DEP_3)
	v_add_co_u32 v4, vcc_lo, v30, s0
	s_wait_alu 0xfffd
	v_add_co_ci_u32_e32 v5, vcc_lo, s1, v31, vcc_lo
	v_cvt_f32_f64_e32 v21, v[32:33]
	s_delay_alu instid0(VALU_DEP_3)
	v_add_co_u32 v10, vcc_lo, v4, s0
	v_cvt_f32_f64_e32 v22, v[34:35]
	v_cvt_f32_f64_e32 v25, v[36:37]
	;; [unrolled: 1-line block ×3, first 2 shown]
	s_wait_alu 0xfffd
	v_add_co_ci_u32_e32 v11, vcc_lo, s1, v5, vcc_lo
	v_cvt_f32_f64_e32 v14, v[40:41]
	v_cvt_f32_f64_e32 v15, v[15:16]
	;; [unrolled: 1-line block ×3, first 2 shown]
	v_add_co_u32 v32, vcc_lo, v10, s0
	s_wait_alu 0xfffd
	v_add_co_ci_u32_e32 v33, vcc_lo, s1, v11, vcc_lo
	global_store_b64 v[30:31], v[28:29], off
	v_add_co_u32 v0, vcc_lo, v32, s0
	s_wait_alu 0xfffd
	v_add_co_ci_u32_e32 v1, vcc_lo, s1, v33, vcc_lo
	v_cvt_f32_f64_e32 v17, v[23:24]
	v_cvt_f32_f64_e32 v24, v[44:45]
	v_add_co_u32 v18, vcc_lo, v0, s0
	s_wait_alu 0xfffd
	v_add_co_ci_u32_e32 v19, vcc_lo, s1, v1, vcc_lo
	v_cvt_f32_f64_e32 v23, v[42:43]
	global_store_b64 v[4:5], v[2:3], off
	v_add_co_u32 v2, vcc_lo, v18, s0
	s_wait_alu 0xfffd
	v_add_co_ci_u32_e32 v3, vcc_lo, s1, v19, vcc_lo
	global_store_b64 v[10:11], v[6:7], off
	v_add_co_u32 v4, vcc_lo, v2, s0
	s_wait_alu 0xfffd
	v_add_co_ci_u32_e32 v5, vcc_lo, s1, v3, vcc_lo
	;; [unrolled: 4-line block ×4, first 2 shown]
	global_store_b64 v[18:19], v[21:22], off
	global_store_b64 v[2:3], v[25:26], off
	;; [unrolled: 1-line block ×5, first 2 shown]
.LBB0_18:
	s_nop 0
	s_sendmsg sendmsg(MSG_DEALLOC_VGPRS)
	s_endpgm
	.section	.rodata,"a",@progbits
	.p2align	6, 0x0
	.amdhsa_kernel bluestein_single_back_len1452_dim1_sp_op_CI_CI
		.amdhsa_group_segment_fixed_size 11616
		.amdhsa_private_segment_fixed_size 0
		.amdhsa_kernarg_size 104
		.amdhsa_user_sgpr_count 2
		.amdhsa_user_sgpr_dispatch_ptr 0
		.amdhsa_user_sgpr_queue_ptr 0
		.amdhsa_user_sgpr_kernarg_segment_ptr 1
		.amdhsa_user_sgpr_dispatch_id 0
		.amdhsa_user_sgpr_private_segment_size 0
		.amdhsa_wavefront_size32 1
		.amdhsa_uses_dynamic_stack 0
		.amdhsa_enable_private_segment 0
		.amdhsa_system_sgpr_workgroup_id_x 1
		.amdhsa_system_sgpr_workgroup_id_y 0
		.amdhsa_system_sgpr_workgroup_id_z 0
		.amdhsa_system_sgpr_workgroup_info 0
		.amdhsa_system_vgpr_workitem_id 0
		.amdhsa_next_free_vgpr 211
		.amdhsa_next_free_sgpr 20
		.amdhsa_reserve_vcc 1
		.amdhsa_float_round_mode_32 0
		.amdhsa_float_round_mode_16_64 0
		.amdhsa_float_denorm_mode_32 3
		.amdhsa_float_denorm_mode_16_64 3
		.amdhsa_fp16_overflow 0
		.amdhsa_workgroup_processor_mode 1
		.amdhsa_memory_ordered 1
		.amdhsa_forward_progress 0
		.amdhsa_round_robin_scheduling 0
		.amdhsa_exception_fp_ieee_invalid_op 0
		.amdhsa_exception_fp_denorm_src 0
		.amdhsa_exception_fp_ieee_div_zero 0
		.amdhsa_exception_fp_ieee_overflow 0
		.amdhsa_exception_fp_ieee_underflow 0
		.amdhsa_exception_fp_ieee_inexact 0
		.amdhsa_exception_int_div_zero 0
	.end_amdhsa_kernel
	.text
.Lfunc_end0:
	.size	bluestein_single_back_len1452_dim1_sp_op_CI_CI, .Lfunc_end0-bluestein_single_back_len1452_dim1_sp_op_CI_CI
                                        ; -- End function
	.section	.AMDGPU.csdata,"",@progbits
; Kernel info:
; codeLenInByte = 15344
; NumSgprs: 22
; NumVgprs: 211
; ScratchSize: 0
; MemoryBound: 0
; FloatMode: 240
; IeeeMode: 1
; LDSByteSize: 11616 bytes/workgroup (compile time only)
; SGPRBlocks: 2
; VGPRBlocks: 26
; NumSGPRsForWavesPerEU: 22
; NumVGPRsForWavesPerEU: 211
; Occupancy: 7
; WaveLimiterHint : 1
; COMPUTE_PGM_RSRC2:SCRATCH_EN: 0
; COMPUTE_PGM_RSRC2:USER_SGPR: 2
; COMPUTE_PGM_RSRC2:TRAP_HANDLER: 0
; COMPUTE_PGM_RSRC2:TGID_X_EN: 1
; COMPUTE_PGM_RSRC2:TGID_Y_EN: 0
; COMPUTE_PGM_RSRC2:TGID_Z_EN: 0
; COMPUTE_PGM_RSRC2:TIDIG_COMP_CNT: 0
	.text
	.p2alignl 7, 3214868480
	.fill 96, 4, 3214868480
	.type	__hip_cuid_cbfaaac9e32be341,@object ; @__hip_cuid_cbfaaac9e32be341
	.section	.bss,"aw",@nobits
	.globl	__hip_cuid_cbfaaac9e32be341
__hip_cuid_cbfaaac9e32be341:
	.byte	0                               ; 0x0
	.size	__hip_cuid_cbfaaac9e32be341, 1

	.ident	"AMD clang version 19.0.0git (https://github.com/RadeonOpenCompute/llvm-project roc-6.4.0 25133 c7fe45cf4b819c5991fe208aaa96edf142730f1d)"
	.section	".note.GNU-stack","",@progbits
	.addrsig
	.addrsig_sym __hip_cuid_cbfaaac9e32be341
	.amdgpu_metadata
---
amdhsa.kernels:
  - .args:
      - .actual_access:  read_only
        .address_space:  global
        .offset:         0
        .size:           8
        .value_kind:     global_buffer
      - .actual_access:  read_only
        .address_space:  global
        .offset:         8
        .size:           8
        .value_kind:     global_buffer
      - .actual_access:  read_only
        .address_space:  global
        .offset:         16
        .size:           8
        .value_kind:     global_buffer
      - .actual_access:  read_only
        .address_space:  global
        .offset:         24
        .size:           8
        .value_kind:     global_buffer
      - .actual_access:  read_only
        .address_space:  global
        .offset:         32
        .size:           8
        .value_kind:     global_buffer
      - .offset:         40
        .size:           8
        .value_kind:     by_value
      - .address_space:  global
        .offset:         48
        .size:           8
        .value_kind:     global_buffer
      - .address_space:  global
        .offset:         56
        .size:           8
        .value_kind:     global_buffer
      - .address_space:  global
        .offset:         64
        .size:           8
        .value_kind:     global_buffer
      - .address_space:  global
        .offset:         72
        .size:           8
        .value_kind:     global_buffer
      - .offset:         80
        .size:           4
        .value_kind:     by_value
      - .address_space:  global
        .offset:         88
        .size:           8
        .value_kind:     global_buffer
      - .address_space:  global
        .offset:         96
        .size:           8
        .value_kind:     global_buffer
    .group_segment_fixed_size: 11616
    .kernarg_segment_align: 8
    .kernarg_segment_size: 104
    .language:       OpenCL C
    .language_version:
      - 2
      - 0
    .max_flat_workgroup_size: 132
    .name:           bluestein_single_back_len1452_dim1_sp_op_CI_CI
    .private_segment_fixed_size: 0
    .sgpr_count:     22
    .sgpr_spill_count: 0
    .symbol:         bluestein_single_back_len1452_dim1_sp_op_CI_CI.kd
    .uniform_work_group_size: 1
    .uses_dynamic_stack: false
    .vgpr_count:     211
    .vgpr_spill_count: 0
    .wavefront_size: 32
    .workgroup_processor_mode: 1
amdhsa.target:   amdgcn-amd-amdhsa--gfx1201
amdhsa.version:
  - 1
  - 2
...

	.end_amdgpu_metadata
